;; amdgpu-corpus repo=ROCm/rocFFT kind=compiled arch=gfx906 opt=O3
	.text
	.amdgcn_target "amdgcn-amd-amdhsa--gfx906"
	.amdhsa_code_object_version 6
	.protected	bluestein_single_back_len1100_dim1_half_op_CI_CI ; -- Begin function bluestein_single_back_len1100_dim1_half_op_CI_CI
	.globl	bluestein_single_back_len1100_dim1_half_op_CI_CI
	.p2align	8
	.type	bluestein_single_back_len1100_dim1_half_op_CI_CI,@function
bluestein_single_back_len1100_dim1_half_op_CI_CI: ; @bluestein_single_back_len1100_dim1_half_op_CI_CI
; %bb.0:
	s_load_dwordx4 s[16:19], s[4:5], 0x28
	v_mul_u32_u24_e32 v1, 0x254, v0
	v_add_u32_sdwa v24, s6, v1 dst_sel:DWORD dst_unused:UNUSED_PAD src0_sel:DWORD src1_sel:WORD_1
	v_mov_b32_e32 v25, 0
	s_waitcnt lgkmcnt(0)
	v_cmp_gt_u64_e32 vcc, s[16:17], v[24:25]
	s_and_saveexec_b64 s[0:1], vcc
	s_cbranch_execz .LBB0_10
; %bb.1:
	s_load_dwordx4 s[8:11], s[4:5], 0x18
	s_load_dwordx4 s[0:3], s[4:5], 0x0
	s_movk_i32 s6, 0x6e
	v_mul_lo_u16_sdwa v1, v1, s6 dst_sel:DWORD dst_unused:UNUSED_PAD src0_sel:WORD_1 src1_sel:DWORD
	v_sub_u16_e32 v46, v0, v1
	s_waitcnt lgkmcnt(0)
	s_load_dwordx4 s[12:15], s[8:9], 0x0
	v_lshlrev_b32_e32 v48, 2, v46
	global_load_dword v47, v48, s[0:1]
	v_add_u32_e32 v15, 0xa00, v48
	v_add_u32_e32 v16, 0x600, v48
	s_waitcnt lgkmcnt(0)
	v_mad_u64_u32 v[0:1], s[8:9], s14, v24, 0
	v_mad_u64_u32 v[2:3], s[8:9], s12, v46, 0
	s_mul_i32 s7, s13, 0x898
	v_lshlrev_b32_e32 v25, 1, v46
	v_mad_u64_u32 v[4:5], s[8:9], s15, v24, v[1:2]
	v_lshlrev_b32_e32 v29, 3, v46
	v_and_b32_e32 v26, 1, v46
	v_mad_u64_u32 v[5:6], s[8:9], s13, v46, v[3:4]
	v_mov_b32_e32 v1, v4
	v_lshlrev_b64 v[0:1], 2, v[0:1]
	v_mov_b32_e32 v6, s19
	v_mov_b32_e32 v3, v5
	v_add_co_u32_e32 v4, vcc, s18, v0
	v_addc_co_u32_e32 v5, vcc, v6, v1, vcc
	v_lshlrev_b64 v[0:1], 2, v[2:3]
	s_mul_hi_u32 s8, s12, 0x898
	v_add_co_u32_e32 v0, vcc, v4, v0
	v_addc_co_u32_e32 v1, vcc, v5, v1, vcc
	s_add_i32 s7, s8, s7
	s_mul_i32 s8, s12, 0x898
	v_mov_b32_e32 v3, s7
	v_add_co_u32_e32 v2, vcc, s8, v0
	v_addc_co_u32_e32 v3, vcc, v1, v3, vcc
	global_load_dword v4, v[0:1], off
	global_load_dword v5, v[2:3], off
	global_load_dword v45, v48, s[0:1] offset:2200
	s_mul_i32 s9, s13, 0xfffff920
	s_mul_hi_u32 s13, s12, 0xfffff920
	s_sub_i32 s13, s13, s12
	s_add_i32 s9, s13, s9
	s_mulk_i32 s12, 0xf920
	v_mov_b32_e32 v1, s9
	v_add_co_u32_e32 v0, vcc, s12, v2
	v_addc_co_u32_e32 v1, vcc, v3, v1, vcc
	global_load_dword v2, v[0:1], off
	global_load_dword v44, v48, s[0:1] offset:440
	v_mov_b32_e32 v3, s7
	v_add_co_u32_e32 v0, vcc, s8, v0
	v_addc_co_u32_e32 v1, vcc, v1, v3, vcc
	global_load_dword v3, v[0:1], off
	global_load_dword v43, v48, s[0:1] offset:2640
	;; [unrolled: 5-line block ×8, first 2 shown]
	s_load_dwordx4 s[8:11], s[10:11], 0x0
	v_add_co_u32_e32 v20, vcc, s6, v46
	v_lshlrev_b32_e32 v28, 3, v20
	s_movk_i32 s6, 0xfc
	v_add_u32_e32 v19, 0x1b8, v25
	s_load_dwordx2 s[4:5], s[4:5], 0x38
                                        ; implicit-def: $vgpr63
                                        ; implicit-def: $vgpr64
	s_waitcnt vmcnt(18)
	v_lshrrev_b32_e32 v0, 16, v4
	v_mul_f16_sdwa v1, v47, v0 dst_sel:DWORD dst_unused:UNUSED_PAD src0_sel:WORD_1 src1_sel:DWORD
	v_fma_f16 v1, v47, v4, v1
	v_mul_f16_sdwa v4, v47, v4 dst_sel:DWORD dst_unused:UNUSED_PAD src0_sel:WORD_1 src1_sel:DWORD
	v_fma_f16 v0, v47, v0, -v4
	v_pack_b32_f16 v0, v1, v0
	s_waitcnt vmcnt(17)
	v_lshrrev_b32_e32 v1, 16, v5
	s_waitcnt vmcnt(16)
	v_mul_f16_sdwa v4, v45, v1 dst_sel:DWORD dst_unused:UNUSED_PAD src0_sel:WORD_1 src1_sel:DWORD
	v_fma_f16 v4, v45, v5, v4
	v_mul_f16_sdwa v5, v45, v5 dst_sel:DWORD dst_unused:UNUSED_PAD src0_sel:WORD_1 src1_sel:DWORD
	v_fma_f16 v1, v45, v1, -v5
	v_pack_b32_f16 v1, v4, v1
	ds_write_b32 v48, v1 offset:2200
	s_waitcnt vmcnt(15)
	v_lshrrev_b32_e32 v1, 16, v2
	s_waitcnt vmcnt(14)
	v_mul_f16_sdwa v4, v44, v1 dst_sel:DWORD dst_unused:UNUSED_PAD src0_sel:WORD_1 src1_sel:DWORD
	v_fma_f16 v4, v44, v2, v4
	v_mul_f16_sdwa v2, v44, v2 dst_sel:DWORD dst_unused:UNUSED_PAD src0_sel:WORD_1 src1_sel:DWORD
	v_fma_f16 v1, v44, v1, -v2
	v_pack_b32_f16 v1, v4, v1
	ds_write2_b32 v48, v0, v1 offset1:110
	s_waitcnt vmcnt(13)
	v_lshrrev_b32_e32 v0, 16, v3
	s_waitcnt vmcnt(12)
	v_mul_f16_sdwa v1, v43, v0 dst_sel:DWORD dst_unused:UNUSED_PAD src0_sel:WORD_1 src1_sel:DWORD
	v_mul_f16_sdwa v2, v43, v3 dst_sel:DWORD dst_unused:UNUSED_PAD src0_sel:WORD_1 src1_sel:DWORD
	v_fma_f16 v1, v43, v3, v1
	v_fma_f16 v0, v43, v0, -v2
	v_pack_b32_f16 v0, v1, v0
	s_waitcnt vmcnt(11)
	v_lshrrev_b32_e32 v1, 16, v6
	s_waitcnt vmcnt(10)
	v_mul_f16_sdwa v2, v42, v1 dst_sel:DWORD dst_unused:UNUSED_PAD src0_sel:WORD_1 src1_sel:DWORD
	v_mul_f16_sdwa v3, v42, v6 dst_sel:DWORD dst_unused:UNUSED_PAD src0_sel:WORD_1 src1_sel:DWORD
	v_fma_f16 v2, v42, v6, v2
	v_fma_f16 v1, v42, v1, -v3
	v_pack_b32_f16 v2, v2, v1
	s_waitcnt vmcnt(9)
	v_lshrrev_b32_e32 v1, 16, v7
	s_waitcnt vmcnt(8)
	v_mul_f16_sdwa v3, v41, v1 dst_sel:DWORD dst_unused:UNUSED_PAD src0_sel:WORD_1 src1_sel:DWORD
	v_mul_f16_sdwa v4, v41, v7 dst_sel:DWORD dst_unused:UNUSED_PAD src0_sel:WORD_1 src1_sel:DWORD
	v_fma_f16 v3, v41, v7, v3
	v_fma_f16 v1, v41, v1, -v4
	v_pack_b32_f16 v1, v3, v1
	ds_write2_b32 v15, v0, v1 offset0:20 offset1:130
	s_waitcnt vmcnt(7)
	v_lshrrev_b32_e32 v0, 16, v8
	s_waitcnt vmcnt(6)
	v_mul_f16_sdwa v1, v40, v0 dst_sel:DWORD dst_unused:UNUSED_PAD src0_sel:WORD_1 src1_sel:DWORD
	v_mul_f16_sdwa v3, v40, v8 dst_sel:DWORD dst_unused:UNUSED_PAD src0_sel:WORD_1 src1_sel:DWORD
	v_fma_f16 v1, v40, v8, v1
	v_fma_f16 v0, v40, v0, -v3
	v_pack_b32_f16 v0, v1, v0
	v_add_u32_e32 v1, 0x200, v48
	ds_write2_b32 v1, v2, v0 offset0:92 offset1:202
	s_waitcnt vmcnt(5)
	v_lshrrev_b32_e32 v0, 16, v9
	s_waitcnt vmcnt(4)
	v_mul_f16_sdwa v2, v39, v0 dst_sel:DWORD dst_unused:UNUSED_PAD src0_sel:WORD_1 src1_sel:DWORD
	v_mul_f16_sdwa v3, v39, v9 dst_sel:DWORD dst_unused:UNUSED_PAD src0_sel:WORD_1 src1_sel:DWORD
	v_fma_f16 v2, v39, v9, v2
	v_fma_f16 v0, v39, v0, -v3
	v_pack_b32_f16 v2, v2, v0
	s_waitcnt vmcnt(3)
	v_lshrrev_b32_e32 v0, 16, v10
	s_waitcnt vmcnt(2)
	v_mul_f16_sdwa v3, v38, v0 dst_sel:DWORD dst_unused:UNUSED_PAD src0_sel:WORD_1 src1_sel:DWORD
	v_mul_f16_sdwa v4, v38, v10 dst_sel:DWORD dst_unused:UNUSED_PAD src0_sel:WORD_1 src1_sel:DWORD
	v_fma_f16 v3, v38, v10, v3
	v_fma_f16 v0, v38, v0, -v4
	v_pack_b32_f16 v0, v3, v0
	ds_write_b32 v48, v0 offset:1760
	s_waitcnt vmcnt(1)
	v_lshrrev_b32_e32 v0, 16, v11
	s_waitcnt vmcnt(0)
	v_mul_f16_sdwa v3, v37, v0 dst_sel:DWORD dst_unused:UNUSED_PAD src0_sel:WORD_1 src1_sel:DWORD
	v_mul_f16_sdwa v4, v37, v11 dst_sel:DWORD dst_unused:UNUSED_PAD src0_sel:WORD_1 src1_sel:DWORD
	v_fma_f16 v3, v37, v11, v3
	v_fma_f16 v0, v37, v0, -v4
	v_pack_b32_f16 v3, v3, v0
	v_add_u32_e32 v0, 0xc00, v48
	ds_write2_b32 v0, v2, v3 offset0:112 offset1:222
	s_waitcnt lgkmcnt(0)
	s_barrier
	ds_read2_b32 v[2:3], v48 offset1:110
	ds_read2_b32 v[4:5], v16 offset0:56 offset1:166
	ds_read2_b32 v[6:7], v15 offset0:20 offset1:130
	;; [unrolled: 1-line block ×4, first 2 shown]
	s_waitcnt lgkmcnt(0)
	v_pk_add_f16 v9, v2, v5 neg_lo:[0,1] neg_hi:[0,1]
	v_pk_add_f16 v6, v3, v6 neg_lo:[0,1] neg_hi:[0,1]
	;; [unrolled: 1-line block ×3, first 2 shown]
	v_pk_fma_f16 v8, v2, 2.0, v9 op_sel_hi:[1,0,1] neg_lo:[0,0,1] neg_hi:[0,0,1]
	v_pk_fma_f16 v5, v3, 2.0, v6 op_sel_hi:[1,0,1] neg_lo:[0,0,1] neg_hi:[0,0,1]
	v_pk_add_f16 v3, v10, v7 neg_lo:[0,1] neg_hi:[0,1]
	v_pk_add_f16 v12, v11, v12 neg_lo:[0,1] neg_hi:[0,1]
	v_pk_fma_f16 v13, v4, 2.0, v14 op_sel_hi:[1,0,1] neg_lo:[0,0,1] neg_hi:[0,0,1]
	v_lshlrev_b32_e32 v4, 2, v25
	v_pk_fma_f16 v2, v10, 2.0, v3 op_sel_hi:[1,0,1] neg_lo:[0,0,1] neg_hi:[0,0,1]
	v_pk_fma_f16 v11, v11, 2.0, v12 op_sel_hi:[1,0,1] neg_lo:[0,0,1] neg_hi:[0,0,1]
	s_barrier
	ds_write_b64 v29, v[8:9]
	ds_write_b64 v28, v[5:6]
	v_add_u32_e32 v5, 0x400, v4
	ds_write2_b64 v5, v[2:3], v[11:12] offset0:92 offset1:202
	ds_write_b64 v4, v[13:14] offset:3520
	v_lshlrev_b32_e32 v2, 2, v26
	s_waitcnt lgkmcnt(0)
	s_barrier
	global_load_dword v27, v2, s[2:3]
	ds_read2_b32 v[2:3], v48 offset1:110
	ds_read2_b32 v[4:5], v16 offset0:56 offset1:166
	ds_read2_b32 v[6:7], v15 offset0:20 offset1:130
	ds_read2_b32 v[15:16], v1 offset0:92 offset1:202
	ds_read2_b32 v[21:22], v0 offset0:112 offset1:222
	s_waitcnt lgkmcnt(0)
	v_lshrrev_b32_e32 v10, 16, v2
	v_lshrrev_b32_e32 v8, 16, v5
	s_waitcnt vmcnt(0)
	s_barrier
	v_mul_f16_sdwa v9, v8, v27 dst_sel:DWORD dst_unused:UNUSED_PAD src0_sel:DWORD src1_sel:WORD_1
	v_fma_f16 v9, v5, v27, -v9
	v_mul_f16_sdwa v5, v5, v27 dst_sel:DWORD dst_unused:UNUSED_PAD src0_sel:DWORD src1_sel:WORD_1
	v_fma_f16 v5, v8, v27, v5
	v_sub_f16_e32 v9, v2, v9
	v_sub_f16_e32 v23, v10, v5
	v_fma_f16 v8, v2, 2.0, -v9
	v_fma_f16 v18, v10, 2.0, -v23
	v_and_or_b32 v2, v25, s6, v26
	v_lshlrev_b32_e32 v51, 2, v2
	v_pack_b32_f16 v2, v8, v18
	v_pack_b32_f16 v5, v9, v23
	ds_write2_b32 v51, v2, v5 offset1:2
	v_lshrrev_b32_e32 v2, 16, v6
	v_mul_f16_sdwa v5, v2, v27 dst_sel:DWORD dst_unused:UNUSED_PAD src0_sel:DWORD src1_sel:WORD_1
	v_fma_f16 v5, v6, v27, -v5
	v_sub_f16_e32 v11, v3, v5
	v_mul_f16_sdwa v5, v6, v27 dst_sel:DWORD dst_unused:UNUSED_PAD src0_sel:DWORD src1_sel:WORD_1
	v_fma_f16 v10, v3, 2.0, -v11
	v_lshrrev_b32_e32 v3, 16, v3
	v_fma_f16 v2, v2, v27, v5
	v_sub_f16_e32 v30, v3, v2
	s_movk_i32 s6, 0x1fc
	v_lshlrev_b32_e32 v2, 1, v20
	v_fma_f16 v31, v3, 2.0, -v30
	v_and_or_b32 v2, v2, s6, v26
	v_lshlrev_b32_e32 v52, 2, v2
	v_pack_b32_f16 v2, v10, v31
	v_pack_b32_f16 v3, v11, v30
	ds_write2_b32 v52, v2, v3 offset1:2
	v_lshrrev_b32_e32 v2, 16, v7
	v_mul_f16_sdwa v3, v2, v27 dst_sel:DWORD dst_unused:UNUSED_PAD src0_sel:DWORD src1_sel:WORD_1
	v_mul_f16_sdwa v5, v7, v27 dst_sel:DWORD dst_unused:UNUSED_PAD src0_sel:DWORD src1_sel:WORD_1
	v_fma_f16 v3, v7, v27, -v3
	v_fma_f16 v2, v2, v27, v5
	v_lshrrev_b32_e32 v5, 16, v15
	v_sub_f16_e32 v33, v5, v2
	v_sub_f16_e32 v13, v15, v3
	s_movk_i32 s6, 0x3fc
	v_fma_f16 v12, v15, 2.0, -v13
	v_fma_f16 v32, v5, 2.0, -v33
	v_and_or_b32 v2, v19, s6, v26
	v_lshlrev_b32_e32 v53, 2, v2
	v_pack_b32_f16 v2, v12, v32
	v_pack_b32_f16 v3, v13, v33
	ds_write2_b32 v53, v2, v3 offset1:2
	v_lshrrev_b32_e32 v2, 16, v21
	v_mul_f16_sdwa v3, v2, v27 dst_sel:DWORD dst_unused:UNUSED_PAD src0_sel:DWORD src1_sel:WORD_1
	v_fma_f16 v3, v21, v27, -v3
	v_mul_f16_sdwa v5, v21, v27 dst_sel:DWORD dst_unused:UNUSED_PAD src0_sel:DWORD src1_sel:WORD_1
	v_sub_f16_e32 v15, v16, v3
	v_lshrrev_b32_e32 v3, 16, v16
	v_fma_f16 v2, v2, v27, v5
	v_sub_f16_e32 v50, v3, v2
	v_add_u32_e32 v21, 0x294, v25
	v_fma_f16 v14, v16, 2.0, -v15
	v_fma_f16 v58, v3, 2.0, -v50
	v_and_or_b32 v2, v21, s6, v26
	v_lshlrev_b32_e32 v54, 2, v2
	v_pack_b32_f16 v2, v14, v58
	v_pack_b32_f16 v3, v15, v50
	ds_write2_b32 v54, v2, v3 offset1:2
	v_lshrrev_b32_e32 v2, 16, v22
	v_mul_f16_sdwa v3, v2, v27 dst_sel:DWORD dst_unused:UNUSED_PAD src0_sel:DWORD src1_sel:WORD_1
	v_fma_f16 v3, v22, v27, -v3
	v_sub_f16_e32 v17, v4, v3
	v_fma_f16 v16, v4, 2.0, -v17
	v_lshrrev_b32_e32 v3, 16, v4
	v_mul_f16_sdwa v4, v22, v27 dst_sel:DWORD dst_unused:UNUSED_PAD src0_sel:DWORD src1_sel:WORD_1
	v_fma_f16 v2, v2, v27, v4
	v_add_u32_e32 v22, 0x370, v25
	v_sub_f16_e32 v59, v3, v2
	s_movk_i32 s6, 0x7fc
	v_fma_f16 v62, v3, 2.0, -v59
	v_and_or_b32 v2, v22, s6, v26
	s_movk_i32 s6, 0x64
	v_lshlrev_b32_e32 v55, 2, v2
	v_pack_b32_f16 v2, v16, v62
	v_pack_b32_f16 v3, v17, v59
	v_cmp_gt_u16_e32 vcc, s6, v46
	ds_write2_b32 v55, v2, v3 offset1:2
	s_waitcnt lgkmcnt(0)
	s_barrier
	s_and_saveexec_b64 s[6:7], vcc
	s_cbranch_execz .LBB0_3
; %bb.2:
	ds_read2_b32 v[8:9], v48 offset1:100
	ds_read2_b32 v[10:11], v1 offset0:72 offset1:172
	v_add_u32_e32 v1, 0x400, v48
	ds_read2_b32 v[12:13], v1 offset0:144 offset1:244
	v_add_u32_e32 v1, 0x800, v48
	ds_read2_b32 v[14:15], v1 offset0:88 offset1:188
	ds_read2_b32 v[16:17], v0 offset0:32 offset1:132
	ds_read_b32 v63, v48 offset:4000
	s_waitcnt lgkmcnt(5)
	v_lshrrev_b32_e32 v18, 16, v8
	v_lshrrev_b32_e32 v23, 16, v9
	s_waitcnt lgkmcnt(4)
	v_lshrrev_b32_e32 v31, 16, v10
	v_lshrrev_b32_e32 v30, 16, v11
	s_waitcnt lgkmcnt(3)
	v_lshrrev_b32_e32 v32, 16, v12
	v_lshrrev_b32_e32 v33, 16, v13
	s_waitcnt lgkmcnt(2)
	v_lshrrev_b32_e32 v58, 16, v14
	v_lshrrev_b32_e32 v50, 16, v15
	s_waitcnt lgkmcnt(1)
	v_lshrrev_b32_e32 v62, 16, v16
	v_lshrrev_b32_e32 v59, 16, v17
	s_waitcnt lgkmcnt(0)
	v_lshrrev_b32_e32 v64, 16, v63
.LBB0_3:
	s_or_b64 exec, exec, s[6:7]
	v_and_b32_e32 v49, 3, v46
	v_mad_u64_u32 v[34:35], s[6:7], v49, 40, s[2:3]
	s_movk_i32 s12, 0x3abb
	s_movk_i32 s13, 0x36a6
	global_load_dwordx4 v[0:3], v[34:35], off offset:8
	global_load_dwordx4 v[4:7], v[34:35], off offset:24
	global_load_dwordx2 v[25:26], v[34:35], off offset:40
	s_mov_b32 s14, 0xb08e
	s_mov_b32 s15, 0xb93d
	;; [unrolled: 1-line block ×8, first 2 shown]
	s_waitcnt vmcnt(0)
	s_barrier
	v_mul_f16_sdwa v34, v23, v0 dst_sel:DWORD dst_unused:UNUSED_PAD src0_sel:DWORD src1_sel:WORD_1
	v_mul_f16_sdwa v35, v9, v0 dst_sel:DWORD dst_unused:UNUSED_PAD src0_sel:DWORD src1_sel:WORD_1
	;; [unrolled: 1-line block ×10, first 2 shown]
	v_fma_f16 v34, v9, v0, -v34
	v_fma_f16 v63, v63, v26, -v76
	v_mul_f16_sdwa v57, v30, v2 dst_sel:DWORD dst_unused:UNUSED_PAD src0_sel:DWORD src1_sel:WORD_1
	v_mul_f16_sdwa v75, v17, v25 dst_sel:DWORD dst_unused:UNUSED_PAD src0_sel:DWORD src1_sel:WORD_1
	v_fma_f16 v9, v23, v0, v35
	v_fma_f16 v35, v10, v1, -v36
	v_fma_f16 v10, v31, v1, v56
	v_fma_f16 v56, v12, v3, -v61
	v_fma_f16 v61, v16, v7, -v72
	v_fma_f16 v16, v62, v7, v73
	v_fma_f16 v62, v17, v25, -v74
	v_fma_f16 v23, v64, v26, v77
	v_sub_f16_e32 v78, v34, v63
	v_mul_f16_sdwa v60, v11, v2 dst_sel:DWORD dst_unused:UNUSED_PAD src0_sel:DWORD src1_sel:WORD_1
	v_mul_f16_sdwa v66, v33, v4 dst_sel:DWORD dst_unused:UNUSED_PAD src0_sel:DWORD src1_sel:WORD_1
	;; [unrolled: 1-line block ×6, first 2 shown]
	v_fma_f16 v36, v11, v2, -v57
	v_fma_f16 v17, v59, v25, v75
	v_add_f16_e32 v89, v9, v23
	v_sub_f16_e32 v84, v9, v23
	v_sub_f16_e32 v79, v35, v62
	v_mul_f16_e32 v74, 0xb853, v78
	v_mul_f16_sdwa v65, v12, v3 dst_sel:DWORD dst_unused:UNUSED_PAD src0_sel:DWORD src1_sel:WORD_1
	v_mul_f16_sdwa v71, v15, v6 dst_sel:DWORD dst_unused:UNUSED_PAD src0_sel:DWORD src1_sel:WORD_1
	v_fma_f16 v11, v30, v2, v60
	v_fma_f16 v57, v13, v4, -v66
	v_fma_f16 v13, v33, v4, v67
	v_fma_f16 v33, v14, v5, -v68
	;; [unrolled: 2-line block ×3, first 2 shown]
	v_add_f16_e32 v69, v34, v63
	v_add_f16_e32 v90, v10, v17
	v_sub_f16_e32 v85, v10, v17
	v_sub_f16_e32 v80, v36, v61
	v_mul_f16_e32 v64, 0xb853, v84
	v_mul_f16_e32 v75, 0xbb47, v79
	v_fma_f16 v31, v89, s12, -v74
	v_fma_f16 v12, v32, v3, v65
	v_fma_f16 v15, v50, v6, v71
	v_add_f16_e32 v70, v35, v62
	v_add_f16_e32 v91, v11, v16
	v_sub_f16_e32 v87, v11, v16
	v_sub_f16_e32 v81, v56, v60
	v_mul_f16_e32 v65, 0xbb47, v85
	v_mul_f16_e32 v76, 0xbbeb, v80
	v_fma_f16 v30, v69, s12, v64
	v_fma_f16 v50, v90, s13, -v75
	v_add_f16_e32 v31, v18, v31
	v_add_f16_e32 v71, v36, v61
	v_sub_f16_e32 v86, v12, v15
	v_add_f16_e32 v92, v12, v15
	v_mul_f16_e32 v66, 0xbbeb, v87
	v_mul_f16_e32 v77, 0xba0c, v81
	v_fma_f16 v32, v70, s13, v65
	v_fma_f16 v59, v91, s14, -v76
	v_add_f16_e32 v30, v8, v30
	v_add_f16_e32 v31, v50, v31
	;; [unrolled: 1-line block ×3, first 2 shown]
	v_sub_f16_e32 v88, v13, v14
	v_mul_f16_e32 v67, 0xba0c, v86
	v_fma_f16 v58, v71, s14, v66
	v_fma_f16 v83, v92, s15, -v77
	v_add_f16_e32 v30, v32, v30
	v_add_f16_e32 v31, v59, v31
	;; [unrolled: 1-line block ×3, first 2 shown]
	v_mul_f16_e32 v68, 0xb482, v88
	v_fma_f16 v82, v72, s15, v67
	v_add_f16_e32 v30, v58, v30
	v_add_f16_e32 v31, v83, v31
	v_sub_f16_e32 v83, v57, v33
	v_add_f16_e32 v30, v82, v30
	v_fma_f16 v32, v73, s16, v68
	v_add_f16_e32 v93, v13, v14
	v_mul_f16_e32 v82, 0xb482, v83
	v_add_f16_e32 v58, v32, v30
	v_fma_f16 v30, v93, s16, -v82
	v_add_f16_e32 v59, v30, v31
	v_lshlrev_b32_e32 v32, 2, v19
	v_lshlrev_b32_e32 v31, 2, v21
	;; [unrolled: 1-line block ×3, first 2 shown]
	v_lshrrev_b32_e32 v50, 2, v46
	s_and_saveexec_b64 s[6:7], vcc
	s_cbranch_execz .LBB0_5
; %bb.4:
	v_mul_f16_e32 v101, 0x36a6, v89
	s_movk_i32 s22, 0x3b47
	v_fma_f16 v102, v78, s22, v101
	v_mul_f16_e32 v103, 0xb93d, v90
	s_movk_i32 s23, 0x3a0c
	v_add_f16_e32 v102, v18, v102
	v_fma_f16 v104, v79, s23, v103
	v_add_f16_e32 v102, v104, v102
	v_mul_f16_e32 v104, 0xbbad, v91
	v_fma_f16 v105, v80, s21, v104
	v_add_f16_e32 v102, v105, v102
	v_mul_f16_e32 v105, 0xb08e, v92
	;; [unrolled: 3-line block ×4, first 2 shown]
	v_fma_f16 v108, v69, s13, v107
	v_mul_f16_e32 v109, 0xba0c, v85
	v_add_f16_e32 v108, v8, v108
	v_fma_f16 v110, v70, s15, v109
	v_add_f16_e32 v108, v110, v108
	v_mul_f16_e32 v110, 0x3482, v87
	v_fma_f16 v111, v71, s16, v110
	v_add_f16_e32 v108, v111, v108
	v_mul_f16_e32 v111, 0x3beb, v86
	;; [unrolled: 3-line block ×3, first 2 shown]
	v_fma_f16 v113, v73, s12, v112
	s_movk_i32 s25, 0x3beb
	v_add_f16_e32 v108, v113, v108
	v_mul_f16_e32 v113, 0xb08e, v89
	v_fma_f16 v114, v78, s25, v113
	v_mul_f16_e32 v115, 0xbbad, v90
	v_add_f16_e32 v114, v18, v114
	v_fma_f16 v116, v79, s21, v115
	v_add_f16_e32 v114, v116, v114
	v_mul_f16_e32 v116, 0x36a6, v91
	v_fma_f16 v117, v80, s17, v116
	s_movk_i32 s26, 0x3853
	v_add_f16_e32 v114, v117, v114
	v_mul_f16_e32 v117, 0x3abb, v92
	v_fma_f16 v118, v81, s26, v117
	v_add_f16_e32 v114, v118, v114
	v_mul_f16_e32 v118, 0xb93d, v93
	v_fma_f16 v119, v83, s23, v118
	;; [unrolled: 3-line block ×3, first 2 shown]
	v_mul_f16_e32 v121, 0x3482, v85
	v_add_f16_e32 v120, v8, v120
	v_fma_f16 v122, v70, s16, v121
	v_add_f16_e32 v120, v122, v120
	v_mul_f16_e32 v122, 0x3b47, v87
	v_fma_f16 v123, v71, s13, v122
	v_add_f16_e32 v120, v123, v120
	v_mul_f16_e32 v123, 0xb853, v86
	;; [unrolled: 3-line block ×4, first 2 shown]
	v_fma_f16 v126, v78, s23, v125
	v_mul_f16_e32 v127, 0xb08e, v90
	v_add_f16_e32 v126, v18, v126
	v_fma_f16 v128, v79, s20, v127
	v_add_f16_e32 v126, v128, v126
	v_mul_f16_e32 v128, 0x3abb, v91
	v_fma_f16 v129, v80, s26, v128
	s_movk_i32 s24, 0x3482
	v_add_f16_e32 v126, v129, v126
	v_mul_f16_e32 v129, 0xbbad, v92
	v_fma_f16 v130, v81, s24, v129
	v_add_f16_e32 v126, v130, v126
	v_mul_f16_e32 v130, 0x36a6, v93
	v_fma_f16 v131, v83, s17, v130
	;; [unrolled: 3-line block ×3, first 2 shown]
	v_mul_f16_e32 v133, 0x3beb, v85
	v_add_f16_e32 v132, v8, v132
	v_fma_f16 v134, v70, s14, v133
	v_add_f16_e32 v132, v134, v132
	v_mul_f16_e32 v134, 0xb853, v87
	v_fma_f16 v135, v71, s12, v134
	v_add_f16_e32 v132, v135, v132
	v_mul_f16_e32 v135, 0xb482, v86
	;; [unrolled: 3-line block ×3, first 2 shown]
	v_mul_f16_e32 v21, 0x3abb, v89
	v_fma_f16 v137, v73, s13, v136
	v_mul_f16_e32 v89, 0xbbad, v89
	v_mul_f16_e32 v94, 0x36a6, v90
	v_add_f16_e32 v132, v137, v132
	v_fma_f16 v137, v78, s24, v89
	v_mul_f16_e32 v90, 0x3abb, v90
	v_mul_f16_e32 v96, 0xb08e, v91
	v_add_f16_e32 v137, v18, v137
	;; [unrolled: 4-line block ×4, first 2 shown]
	v_fma_f16 v138, v81, s17, v92
	v_mul_f16_e32 v93, 0xb08e, v93
	v_add_f16_e32 v137, v138, v137
	v_fma_f16 v138, v83, s25, v93
	v_mul_f16_e32 v84, 0xb482, v84
	v_add_f16_e32 v137, v138, v137
	v_fma_f16 v138, v69, s16, v84
	v_mul_f16_e32 v85, 0x3853, v85
	v_fma_f16 v84, v69, s16, -v84
	v_fma_f16 v139, v70, s12, v85
	v_mul_f16_e32 v87, 0xba0c, v87
	v_add_f16_e32 v84, v8, v84
	v_fma_f16 v85, v70, s12, -v85
	v_mul_f16_e32 v86, 0x3b47, v86
	v_add_f16_e32 v84, v85, v84
	v_fma_f16 v85, v71, s15, -v87
	;; [unrolled: 3-line block ×3, first 2 shown]
	v_add_f16_e32 v138, v8, v138
	v_add_f16_e32 v84, v85, v84
	v_fma_f16 v85, v73, s14, -v88
	v_add_f16_e32 v138, v139, v138
	v_fma_f16 v139, v71, s15, v87
	v_add_f16_e32 v84, v85, v84
	v_fma_f16 v85, v78, s18, v125
	;; [unrolled: 2-line block ×7, first 2 shown]
	v_add_f16_e32 v85, v86, v85
	v_fma_f16 v86, v69, s15, -v131
	v_add_f16_e32 v86, v8, v86
	v_fma_f16 v87, v70, s14, -v133
	;; [unrolled: 2-line block ×5, first 2 shown]
	v_add_f16_e32 v86, v87, v86
	v_fma_f16 v87, v78, s20, v113
	v_add_f16_e32 v138, v139, v138
	v_fma_f16 v139, v73, s14, v88
	v_add_f16_e32 v87, v18, v87
	v_fma_f16 v88, v79, s24, v115
	v_fma_f16 v89, v78, s21, v89
	v_add_f16_e32 v87, v88, v87
	v_fma_f16 v88, v80, s22, v116
	v_add_f16_e32 v89, v18, v89
	v_fma_f16 v90, v79, s26, v90
	v_add_f16_e32 v87, v88, v87
	v_fma_f16 v88, v81, s19, v117
	v_mul_f16_e32 v19, 0x3abb, v69
	v_add_f16_e32 v89, v90, v89
	v_fma_f16 v90, v80, s18, v91
	v_add_f16_e32 v87, v88, v87
	v_fma_f16 v88, v83, s18, v118
	;; [unrolled: 2-line block ×3, first 2 shown]
	v_add_f16_e32 v87, v88, v87
	v_fma_f16 v88, v69, s14, -v119
	v_fma_f16 v69, v69, s13, -v107
	v_sub_f16_e32 v19, v19, v64
	v_add_f16_e32 v89, v90, v89
	v_fma_f16 v90, v83, s20, v93
	v_add_f16_e32 v88, v8, v88
	v_add_f16_e32 v69, v8, v69
	;; [unrolled: 1-line block ×5, first 2 shown]
	v_mul_f16_e32 v22, 0x36a6, v70
	v_add_f16_e32 v89, v90, v89
	v_fma_f16 v90, v70, s16, -v121
	v_fma_f16 v70, v70, s15, -v109
	v_add_f16_e32 v8, v8, v35
	v_add_f16_e32 v9, v9, v10
	v_add_f16_e32 v69, v70, v69
	v_fma_f16 v70, v71, s16, -v110
	v_add_f16_e32 v8, v8, v36
	v_add_f16_e32 v9, v9, v11
	v_add_f16_e32 v69, v70, v69
	;; [unrolled: 4-line block ×4, first 2 shown]
	v_mul_f16_e32 v95, 0xb08e, v71
	v_fma_f16 v78, v78, s17, v101
	v_add_f16_e32 v69, v70, v69
	v_add_f16_e32 v21, v18, v21
	;; [unrolled: 1-line block ×3, first 2 shown]
	v_sub_f16_e32 v22, v22, v65
	v_add_f16_e32 v8, v8, v33
	v_add_f16_e32 v9, v9, v14
	v_mul_f16_e32 v97, 0xb93d, v72
	v_add_f16_e32 v78, v18, v78
	v_fma_f16 v79, v79, s18, v103
	v_add_f16_e32 v21, v70, v21
	v_add_f16_e32 v70, v76, v96
	;; [unrolled: 1-line block ×3, first 2 shown]
	v_sub_f16_e32 v22, v95, v66
	v_add_f16_e32 v8, v8, v60
	v_add_f16_e32 v9, v9, v15
	v_mul_f16_e32 v99, 0xbbad, v73
	v_add_f16_e32 v88, v90, v88
	v_fma_f16 v90, v71, s13, -v122
	v_add_f16_e32 v78, v79, v78
	v_fma_f16 v79, v80, s24, v104
	v_add_f16_e32 v21, v70, v21
	v_add_f16_e32 v70, v77, v98
	;; [unrolled: 1-line block ×3, first 2 shown]
	v_sub_f16_e32 v22, v97, v67
	v_add_f16_e32 v8, v8, v61
	v_add_f16_e32 v9, v9, v16
	;; [unrolled: 1-line block ×3, first 2 shown]
	v_fma_f16 v90, v72, s12, -v123
	v_add_f16_e32 v78, v79, v78
	v_fma_f16 v79, v81, s25, v105
	v_add_f16_e32 v21, v70, v21
	v_add_f16_e32 v70, v82, v100
	;; [unrolled: 1-line block ×3, first 2 shown]
	v_sub_f16_e32 v22, v99, v68
	v_add_f16_e32 v8, v8, v62
	v_add_f16_e32 v9, v9, v17
	v_mul_u32_u24_e32 v10, 44, v50
	v_add_f16_e32 v88, v90, v88
	v_fma_f16 v90, v73, s15, -v124
	v_add_f16_e32 v78, v79, v78
	v_fma_f16 v79, v83, s26, v106
	v_add_f16_e32 v21, v70, v21
	v_add_f16_e32 v19, v22, v19
	;; [unrolled: 1-line block ×4, first 2 shown]
	v_or_b32_e32 v10, v10, v49
	v_add_f16_e32 v88, v90, v88
	v_add_f16_e32 v78, v79, v78
	v_lshlrev_b32_e32 v10, 2, v10
	v_pack_b32_f16 v8, v8, v9
	v_pack_b32_f16 v9, v19, v21
	ds_write2_b32 v10, v8, v9 offset1:4
	v_pack_b32_f16 v8, v69, v78
	v_pack_b32_f16 v9, v88, v87
	v_add_f16_e32 v138, v139, v138
	ds_write2_b32 v10, v8, v9 offset0:8 offset1:12
	v_pack_b32_f16 v8, v86, v85
	v_pack_b32_f16 v9, v84, v89
	ds_write2_b32 v10, v8, v9 offset0:16 offset1:20
	v_pack_b32_f16 v8, v138, v137
	v_pack_b32_f16 v9, v132, v126
	;; [unrolled: 3-line block ×3, first 2 shown]
	s_mov_b32 s12, 0x5040100
	ds_write2_b32 v10, v8, v9 offset0:32 offset1:36
	v_perm_b32 v8, v59, v58, s12
	ds_write_b32 v10, v8 offset:160
.LBB0_5:
	s_or_b64 exec, exec, s[6:7]
	s_movk_i32 s6, 0xbb
	v_mul_lo_u16_sdwa v8, v46, s6 dst_sel:DWORD dst_unused:UNUSED_PAD src0_sel:BYTE_0 src1_sel:DWORD
	v_lshrrev_b16_e32 v23, 13, v8
	v_mul_lo_u16_e32 v8, 44, v23
	v_sub_u16_e32 v8, v46, v8
	v_and_b32_e32 v62, 0xff, v8
	v_lshlrev_b32_e32 v8, 4, v62
	s_waitcnt lgkmcnt(0)
	s_barrier
	global_load_dwordx4 v[8:11], v8, s[2:3] offset:168
	v_mul_lo_u16_sdwa v12, v20, s6 dst_sel:DWORD dst_unused:UNUSED_PAD src0_sel:BYTE_0 src1_sel:DWORD
	v_lshrrev_b16_e32 v63, 13, v12
	v_mul_lo_u16_e32 v12, 44, v63
	v_sub_u16_e32 v12, v20, v12
	v_and_b32_e32 v64, 0xff, v12
	v_lshlrev_b32_e32 v12, 4, v64
	global_load_dwordx4 v[12:15], v12, s[2:3] offset:168
	v_add_u32_e32 v61, 0x200, v48
	ds_read2_b32 v[16:17], v48 offset1:110
	v_add_u32_e32 v34, 0x600, v48
	v_add_u32_e32 v33, 0xa00, v48
	;; [unrolled: 1-line block ×3, first 2 shown]
	ds_read2_b32 v[18:19], v61 offset0:92 offset1:202
	ds_read2_b32 v[21:22], v34 offset0:56 offset1:166
	;; [unrolled: 1-line block ×4, first 2 shown]
	s_movk_i32 s7, 0x3b9c
	s_waitcnt lgkmcnt(3)
	v_lshrrev_b32_e32 v67, 16, v18
	s_waitcnt lgkmcnt(2)
	v_lshrrev_b32_e32 v68, 16, v21
	;; [unrolled: 2-line block ×4, first 2 shown]
	s_mov_b32 s13, 0xbb9c
	s_movk_i32 s6, 0x38b4
	s_mov_b32 s14, 0xb8b4
	v_lshrrev_b32_e32 v65, 16, v16
	s_movk_i32 s12, 0x34f2
	v_lshrrev_b32_e32 v72, 16, v22
	v_lshrrev_b32_e32 v73, 16, v36
	;; [unrolled: 1-line block ×5, first 2 shown]
	s_waitcnt vmcnt(0)
	s_barrier
	v_lshlrev_b32_e32 v20, 4, v20
	v_mul_f16_sdwa v77, v68, v9 dst_sel:DWORD dst_unused:UNUSED_PAD src0_sel:DWORD src1_sel:WORD_1
	v_mul_f16_sdwa v79, v69, v10 dst_sel:DWORD dst_unused:UNUSED_PAD src0_sel:DWORD src1_sel:WORD_1
	;; [unrolled: 1-line block ×8, first 2 shown]
	v_fma_f16 v21, v21, v9, -v77
	v_fma_f16 v35, v35, v10, -v79
	;; [unrolled: 1-line block ×3, first 2 shown]
	v_fma_f16 v67, v67, v8, v76
	v_fma_f16 v56, v56, v11, -v81
	v_fma_f16 v70, v70, v11, v82
	v_add_f16_e32 v76, v21, v35
	v_fma_f16 v68, v68, v9, v78
	v_fma_f16 v69, v69, v10, v80
	v_sub_f16_e32 v77, v67, v70
	v_sub_f16_e32 v79, v18, v21
	;; [unrolled: 1-line block ×3, first 2 shown]
	v_add_f16_e32 v81, v18, v56
	v_fma_f16 v76, v76, -0.5, v16
	v_add_f16_e32 v75, v16, v18
	v_sub_f16_e32 v78, v68, v69
	v_add_f16_e32 v79, v79, v80
	v_fma_f16 v16, v81, -0.5, v16
	v_fma_f16 v80, v77, s7, v76
	v_fma_f16 v76, v77, s13, v76
	v_add_f16_e32 v75, v75, v21
	v_fma_f16 v81, v78, s13, v16
	v_fma_f16 v80, v78, s6, v80
	;; [unrolled: 1-line block ×4, first 2 shown]
	v_add_f16_e32 v78, v68, v69
	v_add_f16_e32 v75, v75, v35
	v_fma_f16 v80, v79, s12, v80
	v_fma_f16 v76, v79, s12, v76
	;; [unrolled: 1-line block ×3, first 2 shown]
	v_sub_f16_e32 v81, v21, v18
	v_sub_f16_e32 v82, v35, v56
	v_fma_f16 v78, v78, -0.5, v65
	v_sub_f16_e32 v18, v18, v56
	v_add_f16_e32 v75, v75, v56
	v_add_f16_e32 v81, v81, v82
	v_fma_f16 v16, v77, s14, v16
	v_fma_f16 v56, v18, s13, v78
	v_sub_f16_e32 v21, v21, v35
	v_fma_f16 v79, v81, s12, v79
	v_fma_f16 v16, v81, s12, v16
	v_fma_f16 v35, v21, s14, v56
	v_sub_f16_e32 v56, v67, v68
	v_sub_f16_e32 v81, v70, v69
	v_fma_f16 v78, v18, s7, v78
	v_add_f16_e32 v56, v56, v81
	v_fma_f16 v78, v21, s6, v78
	v_fma_f16 v35, v56, s12, v35
	v_fma_f16 v78, v56, s12, v78
	v_add_f16_e32 v56, v67, v70
	v_mul_f16_sdwa v85, v72, v13 dst_sel:DWORD dst_unused:UNUSED_PAD src0_sel:DWORD src1_sel:WORD_1
	v_mul_f16_sdwa v87, v73, v14 dst_sel:DWORD dst_unused:UNUSED_PAD src0_sel:DWORD src1_sel:WORD_1
	v_add_f16_e32 v77, v65, v67
	v_fma_f16 v56, v56, -0.5, v65
	v_mul_f16_sdwa v84, v19, v12 dst_sel:DWORD dst_unused:UNUSED_PAD src0_sel:DWORD src1_sel:WORD_1
	v_mul_f16_sdwa v86, v22, v13 dst_sel:DWORD dst_unused:UNUSED_PAD src0_sel:DWORD src1_sel:WORD_1
	;; [unrolled: 1-line block ×4, first 2 shown]
	v_fma_f16 v22, v22, v13, -v85
	v_fma_f16 v36, v36, v14, -v87
	v_add_f16_e32 v77, v77, v68
	v_fma_f16 v65, v21, s7, v56
	v_sub_f16_e32 v67, v68, v67
	v_sub_f16_e32 v68, v69, v70
	v_fma_f16 v21, v21, s13, v56
	v_mul_f16_sdwa v83, v71, v12 dst_sel:DWORD dst_unused:UNUSED_PAD src0_sel:DWORD src1_sel:WORD_1
	v_mul_f16_sdwa v89, v74, v15 dst_sel:DWORD dst_unused:UNUSED_PAD src0_sel:DWORD src1_sel:WORD_1
	v_fma_f16 v71, v71, v12, v84
	v_fma_f16 v74, v74, v15, v90
	v_fma_f16 v65, v18, s14, v65
	v_add_f16_e32 v67, v67, v68
	v_fma_f16 v18, v18, s6, v21
	v_add_f16_e32 v56, v22, v36
	v_fma_f16 v19, v19, v12, -v83
	v_fma_f16 v72, v72, v13, v86
	v_fma_f16 v73, v73, v14, v88
	v_fma_f16 v57, v57, v15, -v89
	v_add_f16_e32 v77, v77, v69
	v_fma_f16 v65, v67, s12, v65
	v_fma_f16 v18, v67, s12, v18
	v_fma_f16 v56, v56, -0.5, v17
	v_sub_f16_e32 v67, v71, v74
	v_add_f16_e32 v77, v77, v70
	v_fma_f16 v68, v67, s7, v56
	v_sub_f16_e32 v69, v72, v73
	v_sub_f16_e32 v70, v19, v22
	v_sub_f16_e32 v81, v57, v36
	v_fma_f16 v56, v67, s13, v56
	v_fma_f16 v68, v69, s6, v68
	v_add_f16_e32 v70, v70, v81
	v_fma_f16 v56, v69, s14, v56
	v_fma_f16 v68, v70, s12, v68
	;; [unrolled: 1-line block ×3, first 2 shown]
	v_add_f16_e32 v56, v19, v57
	v_add_f16_e32 v21, v17, v19
	v_fma_f16 v17, v56, -0.5, v17
	v_fma_f16 v56, v69, s13, v17
	v_sub_f16_e32 v81, v22, v19
	v_sub_f16_e32 v82, v36, v57
	v_fma_f16 v56, v67, s6, v56
	v_add_f16_e32 v81, v81, v82
	v_fma_f16 v82, v81, s12, v56
	v_add_f16_e32 v56, v66, v71
	v_add_f16_e32 v56, v56, v72
	v_fma_f16 v17, v69, s7, v17
	v_add_f16_e32 v56, v56, v73
	;; [unrolled: 3-line block ×3, first 2 shown]
	v_add_f16_e32 v56, v72, v73
	v_add_f16_e32 v21, v21, v36
	v_fma_f16 v56, v56, -0.5, v66
	v_sub_f16_e32 v19, v19, v57
	v_add_f16_e32 v21, v21, v57
	v_fma_f16 v57, v19, s13, v56
	v_sub_f16_e32 v22, v22, v36
	v_fma_f16 v36, v22, s14, v57
	v_sub_f16_e32 v57, v71, v72
	v_sub_f16_e32 v69, v74, v73
	v_fma_f16 v56, v19, s7, v56
	v_add_f16_e32 v57, v57, v69
	v_fma_f16 v56, v22, s6, v56
	v_fma_f16 v69, v57, s12, v56
	v_add_f16_e32 v56, v71, v74
	v_fma_f16 v56, v56, -0.5, v66
	v_fma_f16 v36, v57, s12, v36
	v_fma_f16 v57, v22, s7, v56
	v_fma_f16 v22, v22, s13, v56
	v_fma_f16 v57, v19, s14, v57
	v_fma_f16 v19, v19, s6, v22
	v_mul_u32_u24_e32 v22, 0xdc, v23
	v_add_lshl_u32 v56, v22, v62, 2
	v_pack_b32_f16 v22, v75, v77
	v_pack_b32_f16 v23, v80, v35
	ds_write2_b32 v56, v22, v23 offset1:44
	v_pack_b32_f16 v22, v79, v65
	v_pack_b32_f16 v16, v16, v18
	v_sub_f16_e32 v66, v72, v71
	v_sub_f16_e32 v71, v73, v74
	ds_write2_b32 v56, v22, v16 offset0:88 offset1:132
	v_pack_b32_f16 v16, v76, v78
	v_add_f16_e32 v66, v66, v71
	ds_write_b32 v56, v16 offset:704
	v_mul_u32_u24_e32 v16, 0xdc, v63
	v_fma_f16 v17, v81, s12, v17
	v_fma_f16 v71, v66, s12, v57
	;; [unrolled: 1-line block ×3, first 2 shown]
	v_add_lshl_u32 v57, v16, v64, 2
	v_pack_b32_f16 v16, v21, v67
	v_pack_b32_f16 v18, v68, v36
	ds_write2_b32 v57, v16, v18 offset1:44
	v_pack_b32_f16 v16, v82, v71
	v_pack_b32_f16 v17, v17, v19
	ds_write2_b32 v57, v16, v17 offset0:88 offset1:132
	v_pack_b32_f16 v16, v70, v69
	ds_write_b32 v57, v16 offset:704
	v_lshlrev_b32_e32 v16, 4, v46
	s_waitcnt lgkmcnt(0)
	s_barrier
	global_load_dwordx4 v[16:19], v16, s[2:3] offset:872
	v_lshlrev_b32_e32 v35, 2, v46
	global_load_dwordx4 v[20:23], v20, s[2:3] offset:872
	v_mov_b32_e32 v36, s1
	v_add_co_u32_e64 v70, s[0:1], s0, v35
	v_addc_co_u32_e64 v71, s[0:1], 0, v36, s[0:1]
	ds_read2_b32 v[35:36], v48 offset1:110
	ds_read2_b32 v[62:63], v61 offset0:92 offset1:202
	ds_read2_b32 v[64:65], v34 offset0:56 offset1:166
	;; [unrolled: 1-line block ×4, first 2 shown]
	s_waitcnt lgkmcnt(4)
	v_lshrrev_b32_e32 v72, 16, v35
	s_waitcnt lgkmcnt(3)
	v_lshrrev_b32_e32 v73, 16, v62
	;; [unrolled: 2-line block ×5, first 2 shown]
	v_lshrrev_b32_e32 v78, 16, v63
	v_lshrrev_b32_e32 v79, 16, v65
	;; [unrolled: 1-line block ×5, first 2 shown]
	s_movk_i32 s0, 0x1000
	s_waitcnt vmcnt(1)
	v_mul_f16_sdwa v82, v73, v16 dst_sel:DWORD dst_unused:UNUSED_PAD src0_sel:DWORD src1_sel:WORD_1
	v_fma_f16 v82, v62, v16, -v82
	v_mul_f16_sdwa v62, v62, v16 dst_sel:DWORD dst_unused:UNUSED_PAD src0_sel:DWORD src1_sel:WORD_1
	v_fma_f16 v62, v73, v16, v62
	v_mul_f16_sdwa v73, v74, v17 dst_sel:DWORD dst_unused:UNUSED_PAD src0_sel:DWORD src1_sel:WORD_1
	v_fma_f16 v73, v64, v17, -v73
	v_mul_f16_sdwa v64, v64, v17 dst_sel:DWORD dst_unused:UNUSED_PAD src0_sel:DWORD src1_sel:WORD_1
	v_fma_f16 v64, v74, v17, v64
	;; [unrolled: 4-line block ×4, first 2 shown]
	s_waitcnt vmcnt(0)
	v_mul_f16_sdwa v76, v78, v20 dst_sel:DWORD dst_unused:UNUSED_PAD src0_sel:DWORD src1_sel:WORD_1
	v_fma_f16 v76, v63, v20, -v76
	v_mul_f16_sdwa v63, v63, v20 dst_sel:DWORD dst_unused:UNUSED_PAD src0_sel:DWORD src1_sel:WORD_1
	v_fma_f16 v63, v78, v20, v63
	v_mul_f16_sdwa v78, v79, v21 dst_sel:DWORD dst_unused:UNUSED_PAD src0_sel:DWORD src1_sel:WORD_1
	v_fma_f16 v78, v65, v21, -v78
	v_mul_f16_sdwa v65, v65, v21 dst_sel:DWORD dst_unused:UNUSED_PAD src0_sel:DWORD src1_sel:WORD_1
	v_fma_f16 v65, v79, v21, v65
	v_mul_f16_sdwa v79, v80, v22 dst_sel:DWORD dst_unused:UNUSED_PAD src0_sel:DWORD src1_sel:WORD_1
	v_add_f16_e32 v83, v73, v74
	v_fma_f16 v79, v67, v22, -v79
	v_mul_f16_sdwa v67, v67, v22 dst_sel:DWORD dst_unused:UNUSED_PAD src0_sel:DWORD src1_sel:WORD_1
	v_fma_f16 v83, v83, -0.5, v35
	v_sub_f16_e32 v84, v62, v68
	v_fma_f16 v67, v80, v22, v67
	v_mul_f16_sdwa v80, v81, v23 dst_sel:DWORD dst_unused:UNUSED_PAD src0_sel:DWORD src1_sel:WORD_1
	v_fma_f16 v85, v84, s7, v83
	v_sub_f16_e32 v86, v64, v66
	v_sub_f16_e32 v87, v82, v73
	v_sub_f16_e32 v88, v75, v74
	v_fma_f16 v83, v84, s13, v83
	v_fma_f16 v80, v69, v23, -v80
	v_mul_f16_sdwa v69, v69, v23 dst_sel:DWORD dst_unused:UNUSED_PAD src0_sel:DWORD src1_sel:WORD_1
	v_fma_f16 v85, v86, s6, v85
	v_add_f16_e32 v87, v87, v88
	v_fma_f16 v83, v86, s14, v83
	v_fma_f16 v69, v81, v23, v69
	v_add_f16_e32 v81, v35, v82
	v_fma_f16 v85, v87, s12, v85
	v_fma_f16 v83, v87, s12, v83
	v_add_f16_e32 v87, v82, v75
	v_add_f16_e32 v81, v81, v73
	v_fma_f16 v35, v87, -0.5, v35
	v_add_f16_e32 v81, v81, v74
	v_fma_f16 v87, v86, s13, v35
	v_fma_f16 v35, v86, s7, v35
	v_add_f16_e32 v86, v64, v66
	v_add_f16_e32 v81, v81, v75
	v_sub_f16_e32 v88, v73, v82
	v_sub_f16_e32 v89, v74, v75
	v_fma_f16 v86, v86, -0.5, v72
	v_sub_f16_e32 v75, v82, v75
	v_fma_f16 v87, v84, s6, v87
	v_add_f16_e32 v88, v88, v89
	v_fma_f16 v35, v84, s14, v35
	v_fma_f16 v82, v75, s13, v86
	v_sub_f16_e32 v73, v73, v74
	v_fma_f16 v87, v88, s12, v87
	v_fma_f16 v35, v88, s12, v35
	;; [unrolled: 1-line block ×3, first 2 shown]
	v_sub_f16_e32 v82, v62, v64
	v_sub_f16_e32 v88, v68, v66
	v_fma_f16 v86, v75, s7, v86
	v_add_f16_e32 v84, v72, v62
	v_add_f16_e32 v82, v82, v88
	v_fma_f16 v86, v73, s6, v86
	v_add_f16_e32 v84, v84, v64
	v_fma_f16 v74, v82, s12, v74
	v_fma_f16 v82, v82, s12, v86
	v_add_f16_e32 v86, v62, v68
	v_add_f16_e32 v84, v84, v66
	v_fma_f16 v72, v86, -0.5, v72
	v_add_f16_e32 v84, v84, v68
	v_fma_f16 v86, v73, s7, v72
	v_sub_f16_e32 v62, v64, v62
	v_sub_f16_e32 v64, v66, v68
	v_add_f16_e32 v68, v78, v79
	v_fma_f16 v86, v75, s14, v86
	v_add_f16_e32 v62, v62, v64
	v_fma_f16 v66, v73, s13, v72
	v_fma_f16 v68, v68, -0.5, v36
	v_sub_f16_e32 v72, v63, v69
	v_fma_f16 v64, v62, s12, v86
	v_fma_f16 v66, v75, s6, v66
	;; [unrolled: 1-line block ×3, first 2 shown]
	v_sub_f16_e32 v75, v65, v67
	v_sub_f16_e32 v86, v76, v78
	;; [unrolled: 1-line block ×3, first 2 shown]
	v_fma_f16 v68, v72, s13, v68
	v_fma_f16 v73, v75, s6, v73
	v_add_f16_e32 v86, v86, v88
	v_fma_f16 v68, v75, s14, v68
	v_fma_f16 v73, v86, s12, v73
	;; [unrolled: 1-line block ×3, first 2 shown]
	v_add_f16_e32 v86, v76, v80
	v_fma_f16 v62, v62, s12, v66
	v_add_f16_e32 v66, v36, v76
	v_fma_f16 v36, v86, -0.5, v36
	v_add_f16_e32 v66, v66, v78
	v_fma_f16 v86, v75, s13, v36
	v_fma_f16 v36, v75, s7, v36
	v_add_f16_e32 v75, v65, v67
	v_add_f16_e32 v66, v66, v79
	v_sub_f16_e32 v88, v78, v76
	v_sub_f16_e32 v89, v79, v80
	v_fma_f16 v75, v75, -0.5, v77
	v_sub_f16_e32 v76, v76, v80
	v_add_f16_e32 v66, v66, v80
	v_fma_f16 v86, v72, s6, v86
	v_add_f16_e32 v88, v88, v89
	v_fma_f16 v36, v72, s14, v36
	v_fma_f16 v80, v76, s13, v75
	v_sub_f16_e32 v78, v78, v79
	v_fma_f16 v86, v88, s12, v86
	v_fma_f16 v36, v88, s12, v36
	;; [unrolled: 1-line block ×3, first 2 shown]
	v_sub_f16_e32 v80, v63, v65
	v_sub_f16_e32 v88, v69, v67
	v_fma_f16 v75, v76, s7, v75
	v_add_f16_e32 v80, v80, v88
	v_fma_f16 v75, v78, s6, v75
	v_add_f16_e32 v72, v77, v63
	v_fma_f16 v79, v80, s12, v79
	v_fma_f16 v75, v80, s12, v75
	v_add_f16_e32 v80, v63, v69
	v_add_f16_e32 v72, v72, v65
	v_fma_f16 v77, v80, -0.5, v77
	v_add_f16_e32 v72, v72, v67
	v_fma_f16 v80, v78, s7, v77
	v_sub_f16_e32 v63, v65, v63
	v_sub_f16_e32 v65, v67, v69
	v_fma_f16 v67, v78, s13, v77
	v_pack_b32_f16 v35, v35, v62
	v_add_f16_e32 v72, v72, v69
	v_fma_f16 v80, v76, s14, v80
	v_add_f16_e32 v63, v63, v65
	v_fma_f16 v67, v76, s6, v67
	ds_write_b32 v48, v35 offset:2640
	v_pack_b32_f16 v35, v83, v82
	v_fma_f16 v65, v63, s12, v80
	v_fma_f16 v63, v63, s12, v67
	v_pack_b32_f16 v67, v81, v84
	v_pack_b32_f16 v69, v85, v74
	;; [unrolled: 1-line block ×3, first 2 shown]
	ds_write_b32 v48, v35 offset:3520
	v_pack_b32_f16 v35, v66, v72
	ds_write_b32 v48, v69 offset:880
	ds_write_b32 v48, v64 offset:1760
	ds_write2_b32 v48, v67, v35 offset1:110
	v_pack_b32_f16 v35, v73, v79
	ds_write_b32 v48, v35 offset:1320
	v_pack_b32_f16 v35, v86, v65
	ds_write_b32 v48, v35 offset:2200
	;; [unrolled: 2-line block ×4, first 2 shown]
	v_add_co_u32_e64 v35, s[0:1], s0, v70
	v_addc_co_u32_e64 v36, s[0:1], 0, v71, s[0:1]
	s_waitcnt lgkmcnt(0)
	s_barrier
	global_load_dword v62, v[35:36], off offset:304
	s_movk_i32 s0, 0x1130
	v_add_co_u32_e64 v35, s[0:1], s0, v70
	v_addc_co_u32_e64 v36, s[0:1], 0, v71, s[0:1]
	global_load_dword v64, v[35:36], off offset:2200
	global_load_dword v65, v[35:36], off offset:440
	;; [unrolled: 1-line block ×9, first 2 shown]
	ds_read2_b32 v[35:36], v48 offset1:110
	s_waitcnt lgkmcnt(0)
	v_lshrrev_b32_e32 v63, 16, v35
	s_waitcnt vmcnt(9)
	v_mul_f16_sdwa v73, v63, v62 dst_sel:DWORD dst_unused:UNUSED_PAD src0_sel:DWORD src1_sel:WORD_1
	v_fma_f16 v73, v35, v62, -v73
	v_mul_f16_sdwa v35, v35, v62 dst_sel:DWORD dst_unused:UNUSED_PAD src0_sel:DWORD src1_sel:WORD_1
	v_fma_f16 v35, v63, v62, v35
	v_pack_b32_f16 v35, v73, v35
	ds_write_b32 v48, v35
	ds_read2_b32 v[62:63], v34 offset0:56 offset1:166
	s_waitcnt lgkmcnt(0)
	v_lshrrev_b32_e32 v35, 16, v63
	s_waitcnt vmcnt(8)
	v_mul_f16_sdwa v73, v35, v64 dst_sel:DWORD dst_unused:UNUSED_PAD src0_sel:DWORD src1_sel:WORD_1
	v_fma_f16 v73, v63, v64, -v73
	v_mul_f16_sdwa v63, v63, v64 dst_sel:DWORD dst_unused:UNUSED_PAD src0_sel:DWORD src1_sel:WORD_1
	v_fma_f16 v35, v35, v64, v63
	ds_read2_b32 v[63:64], v33 offset0:20 offset1:130
	v_pack_b32_f16 v73, v73, v35
	v_lshrrev_b32_e32 v35, 16, v36
	s_waitcnt vmcnt(7)
	v_mul_f16_sdwa v74, v35, v65 dst_sel:DWORD dst_unused:UNUSED_PAD src0_sel:DWORD src1_sel:WORD_1
	v_fma_f16 v74, v36, v65, -v74
	v_mul_f16_sdwa v36, v36, v65 dst_sel:DWORD dst_unused:UNUSED_PAD src0_sel:DWORD src1_sel:WORD_1
	v_fma_f16 v35, v35, v65, v36
	v_pack_b32_f16 v65, v74, v35
	s_waitcnt lgkmcnt(0)
	v_lshrrev_b32_e32 v74, 16, v63
	s_waitcnt vmcnt(6)
	v_mul_f16_sdwa v35, v74, v66 dst_sel:DWORD dst_unused:UNUSED_PAD src0_sel:DWORD src1_sel:WORD_1
	v_fma_f16 v75, v63, v66, -v35
	ds_read2_b32 v[35:36], v61 offset0:92 offset1:202
	v_mul_f16_sdwa v63, v63, v66 dst_sel:DWORD dst_unused:UNUSED_PAD src0_sel:DWORD src1_sel:WORD_1
	v_fma_f16 v63, v74, v66, v63
	v_pack_b32_f16 v66, v75, v63
	v_add_u32_e32 v63, 0x800, v48
	ds_write2_b32 v63, v73, v66 offset0:38 offset1:148
	s_waitcnt lgkmcnt(1)
	v_lshrrev_b32_e32 v66, 16, v35
	s_waitcnt vmcnt(5)
	v_mul_f16_sdwa v73, v66, v67 dst_sel:DWORD dst_unused:UNUSED_PAD src0_sel:DWORD src1_sel:WORD_1
	v_fma_f16 v73, v35, v67, -v73
	v_mul_f16_sdwa v35, v35, v67 dst_sel:DWORD dst_unused:UNUSED_PAD src0_sel:DWORD src1_sel:WORD_1
	v_fma_f16 v35, v66, v67, v35
	v_pack_b32_f16 v35, v73, v35
	ds_write2_b32 v48, v65, v35 offset0:110 offset1:220
	v_lshrrev_b32_e32 v35, 16, v64
	s_waitcnt vmcnt(4)
	v_mul_f16_sdwa v65, v35, v68 dst_sel:DWORD dst_unused:UNUSED_PAD src0_sel:DWORD src1_sel:WORD_1
	v_fma_f16 v65, v64, v68, -v65
	v_mul_f16_sdwa v64, v64, v68 dst_sel:DWORD dst_unused:UNUSED_PAD src0_sel:DWORD src1_sel:WORD_1
	v_fma_f16 v35, v35, v68, v64
	v_pack_b32_f16 v35, v65, v35
	ds_read2_b32 v[64:65], v60 offset0:112 offset1:222
	v_lshrrev_b32_e32 v66, 16, v36
	s_waitcnt vmcnt(3)
	v_mul_f16_sdwa v67, v66, v69 dst_sel:DWORD dst_unused:UNUSED_PAD src0_sel:DWORD src1_sel:WORD_1
	v_fma_f16 v67, v36, v69, -v67
	v_mul_f16_sdwa v36, v36, v69 dst_sel:DWORD dst_unused:UNUSED_PAD src0_sel:DWORD src1_sel:WORD_1
	v_fma_f16 v36, v66, v69, v36
	s_waitcnt lgkmcnt(0)
	v_lshrrev_b32_e32 v66, 16, v64
	v_pack_b32_f16 v36, v67, v36
	s_waitcnt vmcnt(2)
	v_mul_f16_sdwa v67, v66, v70 dst_sel:DWORD dst_unused:UNUSED_PAD src0_sel:DWORD src1_sel:WORD_1
	v_fma_f16 v67, v64, v70, -v67
	v_mul_f16_sdwa v64, v64, v70 dst_sel:DWORD dst_unused:UNUSED_PAD src0_sel:DWORD src1_sel:WORD_1
	v_fma_f16 v64, v66, v70, v64
	v_pack_b32_f16 v64, v67, v64
	ds_write2_b32 v60, v35, v64 offset0:2 offset1:112
	v_lshrrev_b32_e32 v35, 16, v62
	s_waitcnt vmcnt(1)
	v_mul_f16_sdwa v64, v35, v71 dst_sel:DWORD dst_unused:UNUSED_PAD src0_sel:DWORD src1_sel:WORD_1
	v_fma_f16 v64, v62, v71, -v64
	v_mul_f16_sdwa v62, v62, v71 dst_sel:DWORD dst_unused:UNUSED_PAD src0_sel:DWORD src1_sel:WORD_1
	v_fma_f16 v35, v35, v71, v62
	v_pack_b32_f16 v35, v64, v35
	v_add_u32_e32 v67, 0x400, v48
	ds_write2_b32 v67, v36, v35 offset0:74 offset1:184
	v_lshrrev_b32_e32 v35, 16, v65
	s_waitcnt vmcnt(0)
	v_mul_f16_sdwa v36, v35, v72 dst_sel:DWORD dst_unused:UNUSED_PAD src0_sel:DWORD src1_sel:WORD_1
	v_mul_f16_sdwa v62, v65, v72 dst_sel:DWORD dst_unused:UNUSED_PAD src0_sel:DWORD src1_sel:WORD_1
	v_fma_f16 v36, v65, v72, -v36
	v_fma_f16 v35, v35, v72, v62
	v_pack_b32_f16 v35, v36, v35
	ds_write_b32 v48, v35 offset:3960
	s_waitcnt lgkmcnt(0)
	s_barrier
	ds_read2_b32 v[35:36], v48 offset1:110
	ds_read2_b32 v[64:65], v34 offset0:56 offset1:166
	ds_read2_b32 v[68:69], v33 offset0:20 offset1:130
	;; [unrolled: 1-line block ×4, first 2 shown]
	s_waitcnt lgkmcnt(0)
	v_pk_add_f16 v66, v35, v65 neg_lo:[0,1] neg_hi:[0,1]
	v_pk_add_f16 v75, v36, v68 neg_lo:[0,1] neg_hi:[0,1]
	v_pk_fma_f16 v74, v36, 2.0, v75 op_sel_hi:[1,0,1] neg_lo:[0,0,1] neg_hi:[0,0,1]
	v_pk_add_f16 v36, v70, v69 neg_lo:[0,1] neg_hi:[0,1]
	v_pk_add_f16 v69, v71, v72 neg_lo:[0,1] neg_hi:[0,1]
	v_pk_fma_f16 v65, v35, 2.0, v66 op_sel_hi:[1,0,1] neg_lo:[0,0,1] neg_hi:[0,0,1]
	v_pk_fma_f16 v35, v70, 2.0, v36 op_sel_hi:[1,0,1] neg_lo:[0,0,1] neg_hi:[0,0,1]
	;; [unrolled: 1-line block ×3, first 2 shown]
	v_pk_add_f16 v71, v64, v73 neg_lo:[0,1] neg_hi:[0,1]
	v_pk_fma_f16 v70, v64, 2.0, v71 op_sel_hi:[1,0,1] neg_lo:[0,0,1] neg_hi:[0,0,1]
	s_barrier
	ds_write_b64 v29, v[65:66]
	ds_write_b64 v28, v[74:75]
	;; [unrolled: 1-line block ×5, first 2 shown]
	s_waitcnt lgkmcnt(0)
	s_barrier
	ds_read2_b32 v[29:30], v48 offset1:110
	ds_read2_b32 v[35:36], v34 offset0:56 offset1:166
	ds_read2_b32 v[31:32], v33 offset0:20 offset1:130
	;; [unrolled: 1-line block ×4, first 2 shown]
	s_waitcnt lgkmcnt(0)
	v_lshrrev_b32_e32 v64, 16, v30
	v_lshrrev_b32_e32 v28, 16, v36
	v_mul_f16_sdwa v71, v27, v28 dst_sel:DWORD dst_unused:UNUSED_PAD src0_sel:WORD_1 src1_sel:DWORD
	v_lshrrev_b32_e32 v65, 16, v31
	v_fma_f16 v71, v27, v36, v71
	v_mul_f16_sdwa v36, v27, v36 dst_sel:DWORD dst_unused:UNUSED_PAD src0_sel:WORD_1 src1_sel:DWORD
	v_fma_f16 v36, v27, v28, -v36
	v_mul_f16_sdwa v28, v27, v65 dst_sel:DWORD dst_unused:UNUSED_PAD src0_sel:WORD_1 src1_sel:DWORD
	v_lshrrev_b32_e32 v66, 16, v32
	v_fma_f16 v76, v27, v31, v28
	v_mul_f16_sdwa v28, v27, v31 dst_sel:DWORD dst_unused:UNUSED_PAD src0_sel:WORD_1 src1_sel:DWORD
	v_fma_f16 v31, v27, v65, -v28
	;; [unrolled: 5-line block ×4, first 2 shown]
	v_mul_f16_sdwa v28, v27, v70 dst_sel:DWORD dst_unused:UNUSED_PAD src0_sel:WORD_1 src1_sel:DWORD
	v_lshrrev_b32_e32 v62, 16, v29
	v_lshrrev_b32_e32 v68, 16, v72
	v_fma_f16 v79, v27, v34, v28
	v_mul_f16_sdwa v28, v27, v34 dst_sel:DWORD dst_unused:UNUSED_PAD src0_sel:WORD_1 src1_sel:DWORD
	v_sub_f16_e32 v66, v64, v31
	v_lshrrev_b32_e32 v74, 16, v73
	v_lshrrev_b32_e32 v75, 16, v35
	v_fma_f16 v80, v27, v70, -v28
	v_sub_f16_e32 v28, v29, v71
	v_sub_f16_e32 v71, v62, v36
	v_sub_f16_e32 v34, v30, v76
	v_fma_f16 v69, v64, 2.0, -v66
	v_sub_f16_e32 v64, v68, v32
	v_sub_f16_e32 v32, v73, v77
	v_fma_f16 v27, v29, 2.0, -v28
	v_fma_f16 v62, v62, 2.0, -v71
	;; [unrolled: 1-line block ×3, first 2 shown]
	v_sub_f16_e32 v30, v72, v65
	v_sub_f16_e32 v70, v74, v78
	v_fma_f16 v31, v73, 2.0, -v32
	v_sub_f16_e32 v73, v75, v80
	v_fma_f16 v29, v72, 2.0, -v30
	v_fma_f16 v65, v68, 2.0, -v64
	;; [unrolled: 1-line block ×4, first 2 shown]
	v_pack_b32_f16 v74, v27, v62
	v_pack_b32_f16 v75, v28, v71
	s_barrier
	ds_write2_b32 v51, v74, v75 offset1:2
	v_pack_b32_f16 v51, v33, v69
	v_pack_b32_f16 v74, v34, v66
	v_sub_f16_e32 v36, v35, v79
	ds_write2_b32 v52, v51, v74 offset1:2
	v_pack_b32_f16 v51, v29, v65
	v_pack_b32_f16 v52, v30, v64
	v_fma_f16 v35, v35, 2.0, -v36
	ds_write2_b32 v53, v51, v52 offset1:2
	v_pack_b32_f16 v51, v31, v68
	v_pack_b32_f16 v52, v32, v70
	ds_write2_b32 v54, v51, v52 offset1:2
	v_pack_b32_f16 v51, v35, v72
	v_pack_b32_f16 v52, v36, v73
	ds_write2_b32 v55, v51, v52 offset1:2
	s_waitcnt lgkmcnt(0)
	s_barrier
	s_and_saveexec_b64 s[0:1], vcc
	s_cbranch_execz .LBB0_7
; %bb.6:
	ds_read2_b32 v[27:28], v48 offset1:100
	ds_read2_b32 v[33:34], v61 offset0:72 offset1:172
	ds_read2_b32 v[29:30], v67 offset0:144 offset1:244
	;; [unrolled: 1-line block ×4, first 2 shown]
	ds_read_b32 v58, v48 offset:4000
	s_waitcnt lgkmcnt(5)
	v_lshrrev_b32_e32 v62, 16, v27
	v_lshrrev_b32_e32 v71, 16, v28
	s_waitcnt lgkmcnt(4)
	v_lshrrev_b32_e32 v69, 16, v33
	v_lshrrev_b32_e32 v66, 16, v34
	;; [unrolled: 3-line block ×5, first 2 shown]
	s_waitcnt lgkmcnt(0)
	v_lshrrev_b32_e32 v59, 16, v58
.LBB0_7:
	s_or_b64 exec, exec, s[0:1]
	s_barrier
	s_and_saveexec_b64 s[0:1], vcc
	s_cbranch_execz .LBB0_9
; %bb.8:
	v_mul_f16_sdwa v51, v0, v71 dst_sel:DWORD dst_unused:UNUSED_PAD src0_sel:WORD_1 src1_sel:DWORD
	v_mul_f16_sdwa v52, v26, v59 dst_sel:DWORD dst_unused:UNUSED_PAD src0_sel:WORD_1 src1_sel:DWORD
	;; [unrolled: 1-line block ×3, first 2 shown]
	v_fma_f16 v51, v0, v28, v51
	v_fma_f16 v52, v26, v58, v52
	v_fma_f16 v26, v26, v59, -v55
	v_mul_f16_sdwa v28, v0, v28 dst_sel:DWORD dst_unused:UNUSED_PAD src0_sel:WORD_1 src1_sel:DWORD
	v_mul_f16_sdwa v58, v1, v69 dst_sel:DWORD dst_unused:UNUSED_PAD src0_sel:WORD_1 src1_sel:DWORD
	;; [unrolled: 1-line block ×3, first 2 shown]
	v_sub_f16_e32 v53, v51, v52
	v_fma_f16 v0, v0, v71, -v28
	v_fma_f16 v58, v1, v33, v58
	v_fma_f16 v59, v25, v36, v59
	v_mul_f16_sdwa v36, v25, v36 dst_sel:DWORD dst_unused:UNUSED_PAD src0_sel:WORD_1 src1_sel:DWORD
	v_mul_f16_sdwa v33, v1, v33 dst_sel:DWORD dst_unused:UNUSED_PAD src0_sel:WORD_1 src1_sel:DWORD
	v_mul_f16_e32 v54, 0xbb47, v53
	v_add_f16_e32 v28, v26, v0
	s_movk_i32 s2, 0x36a6
	v_sub_f16_e32 v60, v58, v59
	v_fma_f16 v25, v25, v73, -v36
	v_fma_f16 v1, v1, v69, -v33
	v_fma_f16 v55, v28, s2, v54
	v_mul_f16_e32 v61, 0xba0c, v60
	v_add_f16_e32 v33, v25, v1
	s_mov_b32 s6, 0xb93d
	v_add_f16_e32 v55, v62, v55
	v_fma_f16 v36, v33, s6, v61
	v_add_f16_e32 v36, v36, v55
	v_mul_f16_sdwa v55, v2, v66 dst_sel:DWORD dst_unused:UNUSED_PAD src0_sel:WORD_1 src1_sel:DWORD
	v_mul_f16_sdwa v63, v7, v72 dst_sel:DWORD dst_unused:UNUSED_PAD src0_sel:WORD_1 src1_sel:DWORD
	v_fma_f16 v55, v2, v34, v55
	v_fma_f16 v63, v7, v35, v63
	v_mul_f16_sdwa v35, v7, v35 dst_sel:DWORD dst_unused:UNUSED_PAD src0_sel:WORD_1 src1_sel:DWORD
	v_mul_f16_sdwa v34, v2, v34 dst_sel:DWORD dst_unused:UNUSED_PAD src0_sel:WORD_1 src1_sel:DWORD
	v_sub_f16_e32 v67, v55, v63
	v_fma_f16 v7, v7, v72, -v35
	v_fma_f16 v2, v2, v66, -v34
	v_mul_f16_e32 v69, 0x3482, v67
	v_add_f16_e32 v34, v7, v2
	s_mov_b32 s12, 0xbbad
	v_fma_f16 v35, v34, s12, v69
	v_add_f16_e32 v35, v35, v36
	v_mul_f16_sdwa v36, v3, v65 dst_sel:DWORD dst_unused:UNUSED_PAD src0_sel:WORD_1 src1_sel:DWORD
	v_mul_f16_sdwa v66, v6, v70 dst_sel:DWORD dst_unused:UNUSED_PAD src0_sel:WORD_1 src1_sel:DWORD
	v_fma_f16 v36, v3, v29, v36
	v_fma_f16 v66, v6, v32, v66
	v_mul_f16_sdwa v32, v6, v32 dst_sel:DWORD dst_unused:UNUSED_PAD src0_sel:WORD_1 src1_sel:DWORD
	v_mul_f16_sdwa v29, v3, v29 dst_sel:DWORD dst_unused:UNUSED_PAD src0_sel:WORD_1 src1_sel:DWORD
	v_sub_f16_e32 v71, v36, v66
	v_fma_f16 v6, v6, v70, -v32
	v_fma_f16 v3, v3, v65, -v29
	v_mul_f16_e32 v72, 0x3beb, v71
	v_add_f16_e32 v29, v6, v3
	s_mov_b32 s13, 0xb08e
	v_fma_f16 v32, v29, s13, v72
	v_add_f16_e32 v32, v32, v35
	v_mul_f16_sdwa v35, v4, v64 dst_sel:DWORD dst_unused:UNUSED_PAD src0_sel:WORD_1 src1_sel:DWORD
	v_mul_f16_sdwa v65, v5, v68 dst_sel:DWORD dst_unused:UNUSED_PAD src0_sel:WORD_1 src1_sel:DWORD
	v_fma_f16 v35, v4, v30, v35
	v_fma_f16 v65, v5, v31, v65
	v_mul_f16_sdwa v31, v5, v31 dst_sel:DWORD dst_unused:UNUSED_PAD src0_sel:WORD_1 src1_sel:DWORD
	v_mul_f16_sdwa v30, v4, v30 dst_sel:DWORD dst_unused:UNUSED_PAD src0_sel:WORD_1 src1_sel:DWORD
	v_sub_f16_e32 v70, v35, v65
	v_fma_f16 v5, v5, v68, -v31
	v_fma_f16 v4, v4, v64, -v30
	v_mul_f16_e32 v73, 0x3853, v70
	v_add_f16_e32 v30, v5, v4
	s_movk_i32 s14, 0x3abb
	v_fma_f16 v31, v30, s14, v73
	v_sub_f16_e32 v64, v0, v26
	v_add_f16_e32 v31, v31, v32
	v_add_f16_e32 v32, v52, v51
	v_mul_f16_e32 v68, 0xbb47, v64
	v_sub_f16_e32 v76, v1, v25
	v_fma_f16 v74, v32, s2, -v68
	v_add_f16_e32 v75, v59, v58
	v_mul_f16_e32 v77, 0xba0c, v76
	v_add_f16_e32 v74, v27, v74
	v_fma_f16 v78, v75, s6, -v77
	v_sub_f16_e32 v79, v2, v7
	v_add_f16_e32 v74, v78, v74
	v_add_f16_e32 v78, v63, v55
	v_mul_f16_e32 v80, 0x3482, v79
	v_fma_f16 v81, v78, s12, -v80
	v_sub_f16_e32 v82, v3, v6
	v_add_f16_e32 v74, v81, v74
	v_add_f16_e32 v81, v66, v36
	v_mul_f16_e32 v83, 0x3beb, v82
	;; [unrolled: 5-line block ×3, first 2 shown]
	v_fma_f16 v87, v84, s14, -v86
	v_add_f16_e32 v74, v87, v74
	v_mul_f16_e32 v87, 0xbbeb, v53
	v_fma_f16 v88, v28, s13, v87
	v_mul_f16_e32 v89, 0x3482, v60
	v_add_f16_e32 v88, v62, v88
	v_fma_f16 v90, v33, s12, v89
	v_add_f16_e32 v88, v90, v88
	v_mul_f16_e32 v90, 0x3b47, v67
	v_fma_f16 v91, v34, s2, v90
	v_add_f16_e32 v88, v91, v88
	v_mul_f16_e32 v91, 0xb853, v71
	;; [unrolled: 3-line block ×4, first 2 shown]
	v_fma_f16 v94, v32, s13, -v93
	v_mul_f16_e32 v95, 0x3482, v76
	v_add_f16_e32 v94, v27, v94
	v_fma_f16 v96, v75, s12, -v95
	v_add_f16_e32 v94, v96, v94
	v_mul_f16_e32 v96, 0x3b47, v79
	v_fma_f16 v97, v78, s2, -v96
	v_add_f16_e32 v94, v97, v94
	v_mul_f16_e32 v97, 0xb853, v82
	;; [unrolled: 3-line block ×4, first 2 shown]
	v_fma_f16 v100, v28, s6, v99
	v_mul_f16_e32 v101, 0x3beb, v60
	v_add_f16_e32 v100, v62, v100
	v_fma_f16 v102, v33, s13, v101
	v_add_f16_e32 v100, v102, v100
	v_mul_f16_e32 v102, 0xb853, v67
	v_fma_f16 v103, v34, s14, v102
	v_add_f16_e32 v100, v103, v100
	v_mul_f16_e32 v103, 0xb482, v71
	;; [unrolled: 3-line block ×4, first 2 shown]
	v_fma_f16 v106, v32, s6, -v105
	v_mul_f16_e32 v107, 0x3beb, v76
	v_add_f16_e32 v106, v27, v106
	v_fma_f16 v108, v75, s13, -v107
	v_add_f16_e32 v106, v108, v106
	v_mul_f16_e32 v108, 0xb853, v79
	v_fma_f16 v109, v78, s14, -v108
	v_fma_f16 v54, v28, s2, -v54
	v_add_f16_e32 v106, v109, v106
	v_mul_f16_e32 v109, 0xb482, v82
	v_add_f16_e32 v54, v62, v54
	v_fma_f16 v61, v33, s6, -v61
	v_fma_f16 v110, v81, s12, -v109
	v_add_f16_e32 v54, v61, v54
	v_fma_f16 v61, v34, s12, -v69
	v_add_f16_e32 v106, v110, v106
	v_mul_f16_e32 v110, 0x3b47, v85
	v_add_f16_e32 v54, v61, v54
	v_fma_f16 v61, v29, s13, -v72
	v_fma_f16 v111, v84, s2, -v110
	v_add_f16_e32 v54, v61, v54
	v_fma_f16 v61, v30, s14, -v73
	v_add_f16_e32 v106, v111, v106
	v_mul_f16_e32 v111, 0xb482, v53
	v_add_f16_e32 v54, v61, v54
	v_fma_f16 v61, v32, s2, v68
	v_fma_f16 v112, v28, s12, v111
	v_mul_f16_e32 v113, 0x3853, v60
	v_add_f16_e32 v61, v27, v61
	v_fma_f16 v68, v75, s6, v77
	v_add_f16_e32 v112, v62, v112
	v_fma_f16 v114, v33, s14, v113
	;; [unrolled: 2-line block ×3, first 2 shown]
	v_add_f16_e32 v112, v114, v112
	v_mul_f16_e32 v114, 0xba0c, v67
	v_add_f16_e32 v61, v68, v61
	v_fma_f16 v68, v81, s13, v83
	s_movk_i32 s19, 0x3853
	v_fma_f16 v115, v34, s6, v114
	v_fma_f16 v111, v28, s12, -v111
	v_fma_f16 v99, v28, s6, -v99
	;; [unrolled: 1-line block ×3, first 2 shown]
	v_add_f16_e32 v61, v68, v61
	v_fma_f16 v68, v84, s14, v86
	v_mul_f16_e32 v28, 0x3abb, v28
	s_movk_i32 s20, 0x3b47
	v_add_f16_e32 v112, v115, v112
	v_mul_f16_e32 v115, 0x3b47, v71
	v_add_f16_e32 v111, v62, v111
	v_fma_f16 v113, v33, s14, -v113
	v_add_f16_e32 v99, v62, v99
	v_fma_f16 v101, v33, s13, -v101
	;; [unrolled: 2-line block ×3, first 2 shown]
	v_add_f16_e32 v61, v68, v61
	v_fma_f16 v68, v53, s19, v28
	v_mul_f16_e32 v33, 0x36a6, v33
	s_movk_i32 s16, 0x3beb
	v_fma_f16 v116, v29, s2, v115
	v_add_f16_e32 v111, v113, v111
	v_fma_f16 v113, v34, s6, -v114
	v_add_f16_e32 v99, v101, v99
	v_fma_f16 v101, v34, s14, -v102
	;; [unrolled: 2-line block ×3, first 2 shown]
	v_add_f16_e32 v68, v62, v68
	v_fma_f16 v69, v60, s20, v33
	v_mul_f16_e32 v34, 0xb08e, v34
	s_mov_b32 s18, 0xb853
	v_add_f16_e32 v112, v116, v112
	v_mul_f16_e32 v116, 0xbbeb, v70
	v_add_f16_e32 v111, v113, v111
	v_fma_f16 v113, v29, s2, -v115
	v_add_f16_e32 v99, v101, v99
	v_fma_f16 v101, v29, s12, -v103
	;; [unrolled: 2-line block ×3, first 2 shown]
	v_add_f16_e32 v68, v69, v68
	v_fma_f16 v69, v67, s16, v34
	v_mul_f16_e32 v29, 0xb93d, v29
	s_movk_i32 s16, 0x3a0c
	v_add_f16_e32 v0, v0, v62
	s_mov_b32 s3, 0xbb47
	s_movk_i32 s15, 0x3482
	v_fma_f16 v117, v30, s13, v116
	v_add_f16_e32 v111, v113, v111
	v_fma_f16 v113, v30, s13, -v116
	v_add_f16_e32 v99, v101, v99
	v_fma_f16 v101, v30, s2, -v104
	;; [unrolled: 2-line block ×3, first 2 shown]
	v_add_f16_e32 v68, v69, v68
	v_fma_f16 v69, v71, s16, v29
	v_mul_f16_e32 v30, 0xbbad, v30
	v_add_f16_e32 v0, v1, v0
	v_fma_f16 v1, v53, s18, v28
	s_mov_b32 s17, 0xbbeb
	v_add_f16_e32 v112, v117, v112
	v_mul_f16_e32 v117, 0xb482, v64
	v_add_f16_e32 v68, v69, v68
	v_fma_f16 v69, v70, s15, v30
	v_mul_f16_e32 v64, 0xb853, v64
	v_add_f16_e32 v0, v2, v0
	v_add_f16_e32 v1, v62, v1
	v_fma_f16 v2, v60, s3, v33
	s_mov_b32 s7, 0xba0c
	v_add_f16_e32 v68, v69, v68
	v_fma_f16 v69, v32, s14, v64
	v_mul_f16_e32 v72, 0xbb47, v76
	v_add_f16_e32 v51, v27, v51
	v_add_f16_e32 v1, v2, v1
	v_fma_f16 v2, v67, s17, v34
	v_add_f16_e32 v69, v27, v69
	v_fma_f16 v73, v75, s2, v72
	v_add_f16_e32 v51, v58, v51
	v_add_f16_e32 v1, v2, v1
	v_fma_f16 v2, v71, s7, v29
	v_add_f16_e32 v69, v73, v69
	v_mul_f16_e32 v73, 0xbbeb, v79
	v_add_f16_e32 v51, v55, v51
	v_add_f16_e32 v1, v2, v1
	v_fma_f16 v2, v70, s21, v30
	v_fma_f16 v118, v32, s12, -v117
	v_mul_f16_e32 v119, 0x3853, v76
	v_fma_f16 v76, v78, s13, v73
	v_add_f16_e32 v36, v36, v51
	v_add_f16_e32 v0, v3, v0
	;; [unrolled: 1-line block ×3, first 2 shown]
	v_fma_f16 v2, v32, s14, -v64
	v_add_f16_e32 v118, v27, v118
	v_fma_f16 v120, v75, s14, -v119
	v_add_f16_e32 v69, v76, v69
	v_mul_f16_e32 v76, 0xba0c, v82
	v_add_f16_e32 v35, v35, v36
	v_add_f16_e32 v0, v4, v0
	;; [unrolled: 1-line block ×3, first 2 shown]
	v_fma_f16 v3, v75, s2, -v72
	v_add_f16_e32 v118, v120, v118
	v_mul_f16_e32 v120, 0xba0c, v79
	v_add_f16_e32 v87, v89, v87
	v_fma_f16 v89, v32, s13, v93
	v_fma_f16 v77, v81, s6, v76
	v_add_f16_e32 v35, v65, v35
	v_add_f16_e32 v0, v5, v0
	;; [unrolled: 1-line block ×3, first 2 shown]
	v_fma_f16 v3, v78, s13, -v73
	v_fma_f16 v121, v78, s6, -v120
	v_add_f16_e32 v111, v113, v111
	v_fma_f16 v113, v32, s12, v117
	v_add_f16_e32 v99, v101, v99
	v_fma_f16 v101, v32, s6, v105
	v_add_f16_e32 v89, v27, v89
	v_fma_f16 v90, v75, s12, v95
	v_add_f16_e32 v69, v77, v69
	v_mul_f16_e32 v77, 0xb482, v85
	v_add_f16_e32 v35, v66, v35
	v_add_f16_e32 v0, v6, v0
	;; [unrolled: 1-line block ×3, first 2 shown]
	v_fma_f16 v3, v81, s6, -v76
	v_add_f16_e32 v118, v121, v118
	v_mul_f16_e32 v121, 0x3b47, v82
	v_add_f16_e32 v113, v27, v113
	v_fma_f16 v114, v75, s14, v119
	v_add_f16_e32 v101, v27, v101
	v_fma_f16 v102, v75, s13, v107
	;; [unrolled: 2-line block ×3, first 2 shown]
	v_add_f16_e32 v35, v63, v35
	v_add_f16_e32 v0, v7, v0
	;; [unrolled: 1-line block ×3, first 2 shown]
	v_fma_f16 v3, v84, s12, -v77
	v_fma_f16 v122, v81, s2, -v121
	v_add_f16_e32 v113, v114, v113
	v_fma_f16 v114, v78, s6, v120
	v_add_f16_e32 v101, v102, v101
	v_fma_f16 v102, v78, s14, v108
	;; [unrolled: 2-line block ×3, first 2 shown]
	v_fma_f16 v79, v84, s12, v77
	v_add_f16_e32 v35, v59, v35
	v_add_f16_e32 v0, v25, v0
	;; [unrolled: 1-line block ×3, first 2 shown]
	v_mul_u32_u24_e32 v3, 44, v50
	v_add_f16_e32 v118, v122, v118
	v_mul_f16_e32 v122, 0xbbeb, v85
	v_add_f16_e32 v113, v114, v113
	v_fma_f16 v114, v81, s2, v121
	v_add_f16_e32 v101, v102, v101
	v_fma_f16 v102, v81, s12, v109
	;; [unrolled: 2-line block ×3, first 2 shown]
	v_add_f16_e32 v69, v79, v69
	v_add_f16_e32 v35, v52, v35
	;; [unrolled: 1-line block ×3, first 2 shown]
	v_or_b32_e32 v3, v3, v49
	v_add_f16_e32 v113, v114, v113
	v_fma_f16 v114, v84, s13, v122
	v_add_f16_e32 v101, v102, v101
	v_fma_f16 v102, v84, s2, v110
	v_add_f16_e32 v89, v90, v89
	v_lshlrev_b32_e32 v3, 2, v3
	v_pack_b32_f16 v0, v35, v0
	v_pack_b32_f16 v4, v69, v68
	v_fma_f16 v123, v84, s13, -v122
	v_add_f16_e32 v113, v114, v113
	v_add_f16_e32 v101, v102, v101
	ds_write2_b32 v3, v0, v4 offset1:4
	v_pack_b32_f16 v0, v61, v54
	v_pack_b32_f16 v4, v89, v87
	v_add_f16_e32 v118, v123, v118
	ds_write2_b32 v3, v0, v4 offset0:8 offset1:12
	v_pack_b32_f16 v0, v101, v99
	v_pack_b32_f16 v4, v113, v111
	ds_write2_b32 v3, v0, v4 offset0:16 offset1:20
	v_pack_b32_f16 v0, v118, v112
	v_pack_b32_f16 v4, v106, v100
	;; [unrolled: 3-line block ×3, first 2 shown]
	ds_write2_b32 v3, v0, v4 offset0:32 offset1:36
	v_pack_b32_f16 v0, v2, v1
	ds_write_b32 v3, v0 offset:160
.LBB0_9:
	s_or_b64 exec, exec, s[0:1]
	v_add_u32_e32 v4, 0x200, v48
	s_waitcnt lgkmcnt(0)
	s_barrier
	ds_read2_b32 v[25:26], v4 offset0:92 offset1:202
	v_add_u32_e32 v0, 0x600, v48
	ds_read2_b32 v[27:28], v0 offset0:56 offset1:166
	v_add_u32_e32 v5, 0xa00, v48
	;; [unrolled: 2-line block ×3, first 2 shown]
	ds_read2_b32 v[31:32], v2 offset0:112 offset1:222
	s_waitcnt lgkmcnt(3)
	v_lshrrev_b32_e32 v3, 16, v25
	v_mul_f16_sdwa v53, v8, v3 dst_sel:DWORD dst_unused:UNUSED_PAD src0_sel:WORD_1 src1_sel:DWORD
	s_waitcnt lgkmcnt(2)
	v_lshrrev_b32_e32 v33, 16, v27
	v_fma_f16 v53, v8, v25, v53
	v_mul_f16_sdwa v25, v8, v25 dst_sel:DWORD dst_unused:UNUSED_PAD src0_sel:WORD_1 src1_sel:DWORD
	s_waitcnt lgkmcnt(1)
	v_lshrrev_b32_e32 v34, 16, v29
	v_fma_f16 v3, v8, v3, -v25
	v_mul_f16_sdwa v8, v9, v33 dst_sel:DWORD dst_unused:UNUSED_PAD src0_sel:WORD_1 src1_sel:DWORD
	v_mul_f16_sdwa v25, v9, v27 dst_sel:DWORD dst_unused:UNUSED_PAD src0_sel:WORD_1 src1_sel:DWORD
	s_waitcnt lgkmcnt(0)
	v_lshrrev_b32_e32 v35, 16, v31
	v_fma_f16 v8, v9, v27, v8
	v_fma_f16 v9, v9, v33, -v25
	v_mul_f16_sdwa v25, v10, v34 dst_sel:DWORD dst_unused:UNUSED_PAD src0_sel:WORD_1 src1_sel:DWORD
	v_mul_f16_sdwa v27, v10, v29 dst_sel:DWORD dst_unused:UNUSED_PAD src0_sel:WORD_1 src1_sel:DWORD
	v_lshrrev_b32_e32 v49, 16, v26
	v_fma_f16 v25, v10, v29, v25
	v_fma_f16 v10, v10, v34, -v27
	v_mul_f16_sdwa v27, v11, v35 dst_sel:DWORD dst_unused:UNUSED_PAD src0_sel:WORD_1 src1_sel:DWORD
	v_mul_f16_sdwa v29, v11, v31 dst_sel:DWORD dst_unused:UNUSED_PAD src0_sel:WORD_1 src1_sel:DWORD
	v_fma_f16 v27, v11, v31, v27
	v_fma_f16 v11, v11, v35, -v29
	v_mul_f16_sdwa v29, v12, v49 dst_sel:DWORD dst_unused:UNUSED_PAD src0_sel:WORD_1 src1_sel:DWORD
	v_lshrrev_b32_e32 v50, 16, v28
	v_fma_f16 v29, v12, v26, v29
	v_mul_f16_sdwa v26, v12, v26 dst_sel:DWORD dst_unused:UNUSED_PAD src0_sel:WORD_1 src1_sel:DWORD
	v_fma_f16 v12, v12, v49, -v26
	v_mul_f16_sdwa v26, v13, v50 dst_sel:DWORD dst_unused:UNUSED_PAD src0_sel:WORD_1 src1_sel:DWORD
	ds_read2_b32 v[6:7], v48 offset1:110
	v_lshrrev_b32_e32 v51, 16, v30
	v_fma_f16 v26, v13, v28, v26
	v_mul_f16_sdwa v28, v13, v28 dst_sel:DWORD dst_unused:UNUSED_PAD src0_sel:WORD_1 src1_sel:DWORD
	v_fma_f16 v13, v13, v50, -v28
	v_mul_f16_sdwa v28, v14, v51 dst_sel:DWORD dst_unused:UNUSED_PAD src0_sel:WORD_1 src1_sel:DWORD
	v_lshrrev_b32_e32 v52, 16, v32
	v_fma_f16 v28, v14, v30, v28
	v_mul_f16_sdwa v30, v14, v30 dst_sel:DWORD dst_unused:UNUSED_PAD src0_sel:WORD_1 src1_sel:DWORD
	v_fma_f16 v14, v14, v51, -v30
	v_mul_f16_sdwa v30, v15, v52 dst_sel:DWORD dst_unused:UNUSED_PAD src0_sel:WORD_1 src1_sel:DWORD
	v_fma_f16 v30, v15, v32, v30
	v_mul_f16_sdwa v31, v15, v32 dst_sel:DWORD dst_unused:UNUSED_PAD src0_sel:WORD_1 src1_sel:DWORD
	v_add_f16_e32 v32, v8, v25
	s_waitcnt lgkmcnt(0)
	v_fma_f16 v32, v32, -0.5, v6
	v_sub_f16_e32 v33, v3, v11
	s_mov_b32 s1, 0xbb9c
	s_movk_i32 s3, 0x3b9c
	v_fma_f16 v34, v33, s1, v32
	v_sub_f16_e32 v35, v9, v10
	s_mov_b32 s0, 0xb8b4
	v_sub_f16_e32 v49, v53, v8
	v_sub_f16_e32 v50, v27, v25
	v_fma_f16 v32, v33, s3, v32
	s_movk_i32 s6, 0x38b4
	v_fma_f16 v34, v35, s0, v34
	v_add_f16_e32 v49, v49, v50
	s_movk_i32 s2, 0x34f2
	v_fma_f16 v32, v35, s6, v32
	v_fma_f16 v15, v15, v52, -v31
	v_add_f16_e32 v31, v6, v53
	v_fma_f16 v34, v49, s2, v34
	v_fma_f16 v32, v49, s2, v32
	v_add_f16_e32 v49, v53, v27
	v_lshrrev_b32_e32 v1, 16, v6
	v_add_f16_e32 v31, v31, v8
	v_fma_f16 v6, v49, -0.5, v6
	v_add_f16_e32 v31, v31, v25
	v_fma_f16 v49, v35, s3, v6
	v_sub_f16_e32 v50, v8, v53
	v_sub_f16_e32 v51, v25, v27
	v_fma_f16 v6, v35, s1, v6
	v_add_f16_e32 v35, v9, v10
	v_add_f16_e32 v31, v31, v27
	v_fma_f16 v49, v33, s0, v49
	v_add_f16_e32 v50, v50, v51
	v_fma_f16 v6, v33, s6, v6
	v_fma_f16 v35, v35, -0.5, v1
	v_sub_f16_e32 v27, v53, v27
	v_fma_f16 v49, v50, s2, v49
	v_fma_f16 v6, v50, s2, v6
	;; [unrolled: 1-line block ×3, first 2 shown]
	v_sub_f16_e32 v8, v8, v25
	v_fma_f16 v25, v8, s6, v50
	v_sub_f16_e32 v50, v3, v9
	v_sub_f16_e32 v51, v11, v10
	v_fma_f16 v35, v27, s1, v35
	v_add_f16_e32 v50, v50, v51
	v_fma_f16 v35, v8, s0, v35
	v_fma_f16 v25, v50, s2, v25
	;; [unrolled: 1-line block ×3, first 2 shown]
	v_add_f16_e32 v50, v3, v11
	v_add_f16_e32 v33, v1, v3
	v_fma_f16 v1, v50, -0.5, v1
	v_add_f16_e32 v33, v33, v9
	v_fma_f16 v50, v8, s1, v1
	v_sub_f16_e32 v3, v9, v3
	v_sub_f16_e32 v9, v10, v11
	v_fma_f16 v1, v8, s3, v1
	v_add_f16_e32 v8, v26, v28
	v_add_f16_e32 v33, v33, v10
	v_fma_f16 v50, v27, s6, v50
	v_add_f16_e32 v3, v3, v9
	v_fma_f16 v8, v8, -0.5, v7
	v_sub_f16_e32 v10, v12, v15
	v_add_f16_e32 v33, v33, v11
	v_fma_f16 v9, v3, s2, v50
	v_fma_f16 v1, v27, s0, v1
	;; [unrolled: 1-line block ×3, first 2 shown]
	v_sub_f16_e32 v27, v13, v14
	v_sub_f16_e32 v50, v29, v26
	v_sub_f16_e32 v51, v30, v28
	v_fma_f16 v8, v10, s3, v8
	v_fma_f16 v11, v27, s0, v11
	v_add_f16_e32 v50, v50, v51
	v_fma_f16 v8, v27, s6, v8
	v_fma_f16 v11, v50, s2, v11
	;; [unrolled: 1-line block ×3, first 2 shown]
	v_add_f16_e32 v50, v29, v30
	v_lshrrev_b32_e32 v36, 16, v7
	v_fma_f16 v1, v3, s2, v1
	v_add_f16_e32 v3, v7, v29
	v_fma_f16 v7, v50, -0.5, v7
	v_add_f16_e32 v3, v3, v26
	v_fma_f16 v50, v27, s3, v7
	v_fma_f16 v7, v27, s1, v7
	v_add_f16_e32 v27, v13, v14
	v_add_f16_e32 v3, v3, v28
	v_sub_f16_e32 v51, v26, v29
	v_sub_f16_e32 v52, v28, v30
	v_fma_f16 v27, v27, -0.5, v36
	v_sub_f16_e32 v29, v29, v30
	v_add_f16_e32 v3, v3, v30
	v_fma_f16 v50, v10, s0, v50
	v_add_f16_e32 v51, v51, v52
	v_fma_f16 v7, v10, s6, v7
	v_fma_f16 v30, v29, s3, v27
	v_sub_f16_e32 v26, v26, v28
	v_fma_f16 v50, v51, s2, v50
	v_fma_f16 v7, v51, s2, v7
	;; [unrolled: 1-line block ×3, first 2 shown]
	v_sub_f16_e32 v30, v12, v13
	v_sub_f16_e32 v51, v15, v14
	v_fma_f16 v27, v29, s1, v27
	v_add_f16_e32 v30, v30, v51
	v_fma_f16 v27, v26, s0, v27
	v_add_f16_e32 v10, v36, v12
	v_fma_f16 v28, v30, s2, v28
	v_fma_f16 v27, v30, s2, v27
	v_add_f16_e32 v30, v12, v15
	v_add_f16_e32 v10, v10, v13
	v_fma_f16 v30, v30, -0.5, v36
	v_add_f16_e32 v10, v10, v14
	v_fma_f16 v36, v26, s1, v30
	v_sub_f16_e32 v12, v13, v12
	v_sub_f16_e32 v13, v14, v15
	v_fma_f16 v14, v26, s3, v30
	v_pack_b32_f16 v9, v49, v9
	v_pack_b32_f16 v1, v6, v1
	v_add_f16_e32 v10, v10, v15
	v_fma_f16 v36, v29, s6, v36
	v_add_f16_e32 v12, v12, v13
	v_fma_f16 v14, v29, s0, v14
	s_barrier
	ds_write2_b32 v56, v9, v1 offset0:88 offset1:132
	v_pack_b32_f16 v1, v32, v35
	v_fma_f16 v13, v12, s2, v36
	v_fma_f16 v12, v12, s2, v14
	v_pack_b32_f16 v14, v31, v33
	v_pack_b32_f16 v15, v34, v25
	ds_write_b32 v56, v1 offset:704
	v_pack_b32_f16 v1, v3, v10
	v_pack_b32_f16 v3, v11, v28
	ds_write2_b32 v56, v14, v15 offset1:44
	ds_write2_b32 v57, v1, v3 offset1:44
	v_pack_b32_f16 v1, v50, v13
	v_pack_b32_f16 v3, v7, v12
	ds_write2_b32 v57, v1, v3 offset0:88 offset1:132
	v_pack_b32_f16 v1, v8, v27
	ds_write_b32 v57, v1 offset:704
	s_waitcnt lgkmcnt(0)
	s_barrier
	ds_read2_b32 v[6:7], v48 offset1:110
	ds_read2_b32 v[8:9], v4 offset0:92 offset1:202
	ds_read2_b32 v[10:11], v0 offset0:56 offset1:166
	;; [unrolled: 1-line block ×4, first 2 shown]
	s_waitcnt lgkmcnt(4)
	v_lshrrev_b32_e32 v1, 16, v6
	s_waitcnt lgkmcnt(3)
	v_lshrrev_b32_e32 v3, 16, v8
	v_mul_f16_sdwa v33, v16, v3 dst_sel:DWORD dst_unused:UNUSED_PAD src0_sel:WORD_1 src1_sel:DWORD
	s_waitcnt lgkmcnt(2)
	v_lshrrev_b32_e32 v25, 16, v10
	v_fma_f16 v33, v16, v8, v33
	v_mul_f16_sdwa v8, v16, v8 dst_sel:DWORD dst_unused:UNUSED_PAD src0_sel:WORD_1 src1_sel:DWORD
	v_fma_f16 v3, v16, v3, -v8
	v_mul_f16_sdwa v8, v17, v25 dst_sel:DWORD dst_unused:UNUSED_PAD src0_sel:WORD_1 src1_sel:DWORD
	s_waitcnt lgkmcnt(0)
	v_lshrrev_b32_e32 v27, 16, v14
	v_fma_f16 v8, v17, v10, v8
	v_mul_f16_sdwa v10, v17, v10 dst_sel:DWORD dst_unused:UNUSED_PAD src0_sel:WORD_1 src1_sel:DWORD
	v_fma_f16 v10, v17, v25, -v10
	v_mul_f16_sdwa v17, v19, v27 dst_sel:DWORD dst_unused:UNUSED_PAD src0_sel:WORD_1 src1_sel:DWORD
	v_lshrrev_b32_e32 v30, 16, v11
	v_fma_f16 v17, v19, v14, v17
	v_mul_f16_sdwa v14, v19, v14 dst_sel:DWORD dst_unused:UNUSED_PAD src0_sel:WORD_1 src1_sel:DWORD
	v_fma_f16 v14, v19, v27, -v14
	v_mul_f16_sdwa v19, v21, v30 dst_sel:DWORD dst_unused:UNUSED_PAD src0_sel:WORD_1 src1_sel:DWORD
	v_lshrrev_b32_e32 v26, 16, v12
	v_lshrrev_b32_e32 v32, 16, v15
	v_fma_f16 v19, v21, v11, v19
	v_mul_f16_sdwa v11, v21, v11 dst_sel:DWORD dst_unused:UNUSED_PAD src0_sel:WORD_1 src1_sel:DWORD
	v_mul_f16_sdwa v16, v18, v26 dst_sel:DWORD dst_unused:UNUSED_PAD src0_sel:WORD_1 src1_sel:DWORD
	v_fma_f16 v11, v21, v30, -v11
	v_mul_f16_sdwa v21, v23, v32 dst_sel:DWORD dst_unused:UNUSED_PAD src0_sel:WORD_1 src1_sel:DWORD
	v_lshrrev_b32_e32 v29, 16, v9
	v_fma_f16 v16, v18, v12, v16
	v_mul_f16_sdwa v12, v18, v12 dst_sel:DWORD dst_unused:UNUSED_PAD src0_sel:WORD_1 src1_sel:DWORD
	v_fma_f16 v21, v23, v15, v21
	v_mul_f16_sdwa v15, v23, v15 dst_sel:DWORD dst_unused:UNUSED_PAD src0_sel:WORD_1 src1_sel:DWORD
	v_fma_f16 v12, v18, v26, -v12
	v_mul_f16_sdwa v18, v20, v29 dst_sel:DWORD dst_unused:UNUSED_PAD src0_sel:WORD_1 src1_sel:DWORD
	v_fma_f16 v15, v23, v32, -v15
	v_add_f16_e32 v23, v8, v16
	v_lshrrev_b32_e32 v31, 16, v13
	v_fma_f16 v18, v20, v9, v18
	v_mul_f16_sdwa v9, v20, v9 dst_sel:DWORD dst_unused:UNUSED_PAD src0_sel:WORD_1 src1_sel:DWORD
	v_fma_f16 v23, v23, -0.5, v6
	v_sub_f16_e32 v25, v3, v14
	v_fma_f16 v9, v20, v29, -v9
	v_mul_f16_sdwa v20, v22, v31 dst_sel:DWORD dst_unused:UNUSED_PAD src0_sel:WORD_1 src1_sel:DWORD
	v_fma_f16 v26, v25, s1, v23
	v_sub_f16_e32 v27, v10, v12
	v_sub_f16_e32 v29, v33, v8
	;; [unrolled: 1-line block ×3, first 2 shown]
	v_fma_f16 v23, v25, s3, v23
	v_fma_f16 v20, v22, v13, v20
	v_mul_f16_sdwa v13, v22, v13 dst_sel:DWORD dst_unused:UNUSED_PAD src0_sel:WORD_1 src1_sel:DWORD
	v_fma_f16 v26, v27, s0, v26
	v_add_f16_e32 v29, v29, v30
	v_fma_f16 v23, v27, s6, v23
	v_fma_f16 v13, v22, v31, -v13
	v_add_f16_e32 v22, v6, v33
	v_fma_f16 v26, v29, s2, v26
	v_fma_f16 v23, v29, s2, v23
	v_add_f16_e32 v29, v33, v17
	v_add_f16_e32 v22, v22, v8
	v_fma_f16 v6, v29, -0.5, v6
	v_add_f16_e32 v22, v22, v16
	v_fma_f16 v29, v27, s3, v6
	v_sub_f16_e32 v30, v8, v33
	v_sub_f16_e32 v31, v16, v17
	v_fma_f16 v6, v27, s1, v6
	v_add_f16_e32 v27, v10, v12
	v_add_f16_e32 v22, v22, v17
	v_fma_f16 v29, v25, s0, v29
	v_add_f16_e32 v30, v30, v31
	v_fma_f16 v6, v25, s6, v6
	v_fma_f16 v27, v27, -0.5, v1
	v_sub_f16_e32 v17, v33, v17
	v_fma_f16 v29, v30, s2, v29
	v_fma_f16 v6, v30, s2, v6
	;; [unrolled: 1-line block ×3, first 2 shown]
	v_sub_f16_e32 v8, v8, v16
	v_fma_f16 v16, v8, s6, v30
	v_sub_f16_e32 v30, v3, v10
	v_sub_f16_e32 v31, v14, v12
	v_fma_f16 v27, v17, s1, v27
	v_add_f16_e32 v30, v30, v31
	v_fma_f16 v27, v8, s0, v27
	v_fma_f16 v16, v30, s2, v16
	;; [unrolled: 1-line block ×3, first 2 shown]
	v_add_f16_e32 v30, v3, v14
	v_add_f16_e32 v25, v1, v3
	v_fma_f16 v1, v30, -0.5, v1
	v_add_f16_e32 v25, v25, v10
	v_fma_f16 v30, v8, s1, v1
	v_sub_f16_e32 v3, v10, v3
	v_sub_f16_e32 v10, v12, v14
	v_fma_f16 v1, v8, s3, v1
	v_add_f16_e32 v8, v19, v20
	v_add_f16_e32 v25, v25, v12
	v_fma_f16 v30, v17, s6, v30
	v_add_f16_e32 v3, v3, v10
	v_fma_f16 v8, v8, -0.5, v7
	v_sub_f16_e32 v12, v9, v15
	v_add_f16_e32 v25, v25, v14
	v_fma_f16 v10, v3, s2, v30
	v_fma_f16 v1, v17, s0, v1
	;; [unrolled: 1-line block ×3, first 2 shown]
	v_sub_f16_e32 v17, v11, v13
	v_sub_f16_e32 v30, v18, v19
	;; [unrolled: 1-line block ×3, first 2 shown]
	v_fma_f16 v8, v12, s3, v8
	v_fma_f16 v14, v17, s0, v14
	v_add_f16_e32 v30, v30, v31
	v_fma_f16 v8, v17, s6, v8
	v_fma_f16 v14, v30, s2, v14
	v_fma_f16 v8, v30, s2, v8
	v_add_f16_e32 v30, v18, v21
	v_lshrrev_b32_e32 v28, 16, v7
	v_fma_f16 v1, v3, s2, v1
	v_add_f16_e32 v3, v7, v18
	v_fma_f16 v7, v30, -0.5, v7
	v_add_f16_e32 v3, v3, v19
	v_fma_f16 v30, v17, s3, v7
	v_fma_f16 v7, v17, s1, v7
	v_add_f16_e32 v17, v11, v13
	v_add_f16_e32 v3, v3, v20
	v_sub_f16_e32 v31, v19, v18
	v_sub_f16_e32 v32, v20, v21
	v_fma_f16 v17, v17, -0.5, v28
	v_sub_f16_e32 v18, v18, v21
	v_add_f16_e32 v3, v3, v21
	v_fma_f16 v30, v12, s0, v30
	v_add_f16_e32 v31, v31, v32
	v_fma_f16 v7, v12, s6, v7
	v_fma_f16 v21, v18, s3, v17
	v_sub_f16_e32 v19, v19, v20
	v_fma_f16 v30, v31, s2, v30
	v_fma_f16 v7, v31, s2, v7
	;; [unrolled: 1-line block ×3, first 2 shown]
	v_sub_f16_e32 v21, v9, v11
	v_sub_f16_e32 v31, v15, v13
	v_fma_f16 v17, v18, s1, v17
	v_add_f16_e32 v21, v21, v31
	v_fma_f16 v17, v19, s0, v17
	v_add_f16_e32 v12, v28, v9
	v_fma_f16 v20, v21, s2, v20
	v_fma_f16 v17, v21, s2, v17
	v_add_f16_e32 v21, v9, v15
	v_add_f16_e32 v12, v12, v11
	v_fma_f16 v21, v21, -0.5, v28
	v_add_f16_e32 v12, v12, v13
	v_fma_f16 v28, v19, s1, v21
	v_sub_f16_e32 v9, v11, v9
	v_sub_f16_e32 v11, v13, v15
	v_fma_f16 v13, v19, s3, v21
	v_pack_b32_f16 v1, v6, v1
	v_add_f16_e32 v12, v12, v15
	v_fma_f16 v28, v18, s6, v28
	v_add_f16_e32 v9, v9, v11
	v_fma_f16 v13, v18, s0, v13
	ds_write_b32 v48, v1 offset:2640
	v_pack_b32_f16 v1, v23, v27
	v_fma_f16 v11, v9, s2, v28
	v_fma_f16 v9, v9, s2, v13
	v_pack_b32_f16 v13, v22, v25
	v_pack_b32_f16 v15, v26, v16
	;; [unrolled: 1-line block ×3, first 2 shown]
	ds_write_b32 v48, v1 offset:3520
	v_pack_b32_f16 v1, v3, v12
	ds_write_b32 v48, v15 offset:880
	ds_write_b32 v48, v10 offset:1760
	ds_write2_b32 v48, v13, v1 offset1:110
	v_pack_b32_f16 v1, v14, v20
	ds_write_b32 v48, v1 offset:1320
	v_pack_b32_f16 v1, v30, v11
	ds_write_b32 v48, v1 offset:2200
	;; [unrolled: 2-line block ×4, first 2 shown]
	s_waitcnt lgkmcnt(0)
	s_barrier
	ds_read2_b32 v[6:7], v48 offset1:110
	s_mov_b32 s2, 0xdca01dca
	s_mov_b32 s3, 0x3f4dca01
	v_mad_u64_u32 v[8:9], s[0:1], s10, v24, 0
	s_waitcnt lgkmcnt(0)
	v_lshrrev_b32_e32 v3, 16, v6
	v_mul_f16_sdwa v1, v47, v3 dst_sel:DWORD dst_unused:UNUSED_PAD src0_sel:WORD_1 src1_sel:DWORD
	v_fma_f16 v1, v47, v6, v1
	v_cvt_f32_f16_e32 v1, v1
	s_movk_i32 s6, 0x1ff
	s_movk_i32 s7, 0xffe
	v_mul_f16_sdwa v6, v47, v6 dst_sel:DWORD dst_unused:UNUSED_PAD src0_sel:WORD_1 src1_sel:DWORD
	v_cvt_f64_f32_e32 v[10:11], v1
	v_mov_b32_e32 v1, v9
	v_mad_u64_u32 v[12:13], s[0:1], s11, v24, v[1:2]
	v_mul_f64 v[10:11], v[10:11], s[2:3]
	v_fma_f16 v3, v47, v3, -v6
	v_mov_b32_e32 v9, v12
	v_cvt_f32_f16_e32 v6, v3
	v_mov_b32_e32 v3, 0x7c00
	s_movk_i32 s10, 0x40f
	s_mov_b32 s11, 0x8000
	v_lshlrev_b64 v[8:9], 2, v[8:9]
	v_and_or_b32 v1, v11, s6, v10
	v_cmp_ne_u32_e32 vcc, 0, v1
	v_cndmask_b32_e64 v1, 0, 1, vcc
	v_lshrrev_b32_e32 v10, 8, v11
	v_bfe_u32 v12, v11, 20, 11
	v_and_or_b32 v1, v10, s7, v1
	v_sub_u32_e32 v13, 0x3f1, v12
	v_or_b32_e32 v10, 0x1000, v1
	v_med3_i32 v13, v13, 0, 13
	v_lshrrev_b32_e32 v14, v13, v10
	v_lshlrev_b32_e32 v13, v13, v14
	v_cmp_ne_u32_e32 vcc, v13, v10
	v_cndmask_b32_e64 v10, 0, 1, vcc
	v_or_b32_e32 v10, v14, v10
	v_add_u32_e32 v14, 0xfffffc10, v12
	v_lshl_or_b32 v12, v14, 12, v1
	v_cmp_gt_i32_e32 vcc, 1, v14
	v_cndmask_b32_e32 v10, v12, v10, vcc
	v_and_b32_e32 v12, 7, v10
	v_cmp_lt_i32_e32 vcc, 5, v12
	v_cmp_eq_u32_e64 s[0:1], 3, v12
	v_cvt_f64_f32_e32 v[12:13], v6
	v_lshrrev_b32_e32 v10, 2, v10
	s_or_b64 vcc, s[0:1], vcc
	v_addc_co_u32_e32 v10, vcc, 0, v10, vcc
	v_mul_f64 v[12:13], v[12:13], s[2:3]
	v_cmp_gt_i32_e32 vcc, 31, v14
	v_cndmask_b32_e32 v6, v3, v10, vcc
	v_cmp_ne_u32_e32 vcc, 0, v1
	v_cndmask_b32_e64 v1, 0, 1, vcc
	v_lshl_or_b32 v1, v1, 9, v3
	v_cmp_eq_u32_e32 vcc, s10, v14
	v_cndmask_b32_e32 v1, v6, v1, vcc
	v_lshrrev_b32_e32 v6, 16, v11
	v_and_or_b32 v14, v6, s11, v1
	v_and_or_b32 v1, v13, s6, v12
	v_cmp_ne_u32_e32 vcc, 0, v1
	v_cndmask_b32_e64 v1, 0, 1, vcc
	v_lshrrev_b32_e32 v6, 8, v13
	v_bfe_u32 v10, v13, 20, 11
	v_and_or_b32 v1, v6, s7, v1
	v_sub_u32_e32 v11, 0x3f1, v10
	v_or_b32_e32 v6, 0x1000, v1
	v_med3_i32 v11, v11, 0, 13
	v_lshrrev_b32_e32 v12, v11, v6
	v_lshlrev_b32_e32 v11, v11, v12
	v_cmp_ne_u32_e32 vcc, v11, v6
	v_cndmask_b32_e64 v6, 0, 1, vcc
	v_or_b32_e32 v6, v12, v6
	v_add_u32_e32 v12, 0xfffffc10, v10
	v_lshl_or_b32 v10, v12, 12, v1
	v_cmp_gt_i32_e32 vcc, 1, v12
	v_cndmask_b32_e32 v6, v10, v6, vcc
	v_and_b32_e32 v10, 7, v6
	v_cmp_lt_i32_e32 vcc, 5, v10
	v_cmp_eq_u32_e64 s[0:1], 3, v10
	v_lshrrev_b32_e32 v6, 2, v6
	s_or_b64 vcc, s[0:1], vcc
	v_addc_co_u32_e32 v6, vcc, 0, v6, vcc
	v_cmp_gt_i32_e32 vcc, 31, v12
	v_cndmask_b32_e32 v6, v3, v6, vcc
	v_cmp_ne_u32_e32 vcc, 0, v1
	v_cndmask_b32_e64 v1, 0, 1, vcc
	v_lshl_or_b32 v1, v1, 9, v3
	v_cmp_eq_u32_e32 vcc, s10, v12
	v_mad_u64_u32 v[10:11], s[0:1], s8, v46, 0
	v_cndmask_b32_e32 v15, v6, v1, vcc
	ds_read2_b32 v[0:1], v0 offset0:56 offset1:166
	v_mov_b32_e32 v6, v11
	v_mad_u64_u32 v[11:12], s[0:1], s9, v46, v[6:7]
	v_lshrrev_b32_e32 v13, 16, v13
	s_waitcnt lgkmcnt(0)
	v_lshrrev_b32_e32 v6, 16, v1
	v_mul_f16_sdwa v12, v45, v6 dst_sel:DWORD dst_unused:UNUSED_PAD src0_sel:WORD_1 src1_sel:DWORD
	v_fma_f16 v12, v45, v1, v12
	v_cvt_f32_f16_e32 v12, v12
	v_and_or_b32 v15, v13, s11, v15
	v_and_b32_e32 v14, 0xffff, v14
	v_lshl_or_b32 v14, v15, 16, v14
	v_cvt_f64_f32_e32 v[12:13], v12
	v_mov_b32_e32 v15, s5
	v_add_co_u32_e32 v16, vcc, s4, v8
	v_mul_f64 v[12:13], v[12:13], s[2:3]
	v_addc_co_u32_e32 v15, vcc, v15, v9, vcc
	v_lshlrev_b64 v[8:9], 2, v[10:11]
	v_mul_f16_sdwa v1, v45, v1 dst_sel:DWORD dst_unused:UNUSED_PAD src0_sel:WORD_1 src1_sel:DWORD
	v_add_co_u32_e32 v8, vcc, v16, v8
	v_addc_co_u32_e32 v9, vcc, v15, v9, vcc
	v_and_or_b32 v10, v13, s6, v12
	v_cmp_ne_u32_e32 vcc, 0, v10
	v_cndmask_b32_e64 v10, 0, 1, vcc
	v_lshrrev_b32_e32 v11, 8, v13
	v_and_or_b32 v12, v11, s7, v10
	v_bfe_u32 v11, v13, 20, 11
	global_store_dword v[8:9], v14, off
	v_sub_u32_e32 v14, 0x3f1, v11
	v_or_b32_e32 v10, 0x1000, v12
	v_med3_i32 v14, v14, 0, 13
	v_lshrrev_b32_e32 v15, v14, v10
	v_lshlrev_b32_e32 v14, v14, v15
	v_cmp_ne_u32_e32 vcc, v14, v10
	v_fma_f16 v1, v45, v6, -v1
	v_cndmask_b32_e64 v10, 0, 1, vcc
	v_add_u32_e32 v14, 0xfffffc10, v11
	v_cvt_f32_f16_e32 v1, v1
	v_or_b32_e32 v10, v15, v10
	v_lshl_or_b32 v11, v14, 12, v12
	v_cmp_gt_i32_e32 vcc, 1, v14
	v_cndmask_b32_e32 v10, v11, v10, vcc
	v_and_b32_e32 v11, 7, v10
	v_cmp_lt_i32_e32 vcc, 5, v11
	v_cmp_eq_u32_e64 s[0:1], 3, v11
	v_lshrrev_b32_e32 v6, 2, v10
	v_cvt_f64_f32_e32 v[10:11], v1
	s_or_b64 vcc, s[0:1], vcc
	v_addc_co_u32_e32 v1, vcc, 0, v6, vcc
	v_mul_f64 v[10:11], v[10:11], s[2:3]
	v_cmp_gt_i32_e32 vcc, 31, v14
	v_cndmask_b32_e32 v1, v3, v1, vcc
	v_cmp_ne_u32_e32 vcc, 0, v12
	v_cndmask_b32_e64 v6, 0, 1, vcc
	v_lshl_or_b32 v6, v6, 9, v3
	v_cmp_eq_u32_e32 vcc, s10, v14
	v_cndmask_b32_e32 v1, v1, v6, vcc
	v_lshrrev_b32_e32 v6, 16, v13
	v_and_or_b32 v1, v6, s11, v1
	v_and_or_b32 v6, v11, s6, v10
	v_cmp_ne_u32_e32 vcc, 0, v6
	v_cndmask_b32_e64 v6, 0, 1, vcc
	v_lshrrev_b32_e32 v10, 8, v11
	v_bfe_u32 v12, v11, 20, 11
	v_and_or_b32 v6, v10, s7, v6
	v_sub_u32_e32 v13, 0x3f1, v12
	v_or_b32_e32 v10, 0x1000, v6
	v_med3_i32 v13, v13, 0, 13
	v_lshrrev_b32_e32 v14, v13, v10
	v_lshlrev_b32_e32 v13, v13, v14
	v_cmp_ne_u32_e32 vcc, v13, v10
	v_cndmask_b32_e64 v10, 0, 1, vcc
	v_add_u32_e32 v12, 0xfffffc10, v12
	v_or_b32_e32 v10, v14, v10
	v_lshl_or_b32 v13, v12, 12, v6
	v_cmp_gt_i32_e32 vcc, 1, v12
	v_cndmask_b32_e32 v10, v13, v10, vcc
	v_and_b32_e32 v13, 7, v10
	v_cmp_lt_i32_e32 vcc, 5, v13
	v_cmp_eq_u32_e64 s[0:1], 3, v13
	v_lshrrev_b32_e32 v10, 2, v10
	s_or_b64 vcc, s[0:1], vcc
	v_addc_co_u32_e32 v10, vcc, 0, v10, vcc
	v_cmp_gt_i32_e32 vcc, 31, v12
	v_cndmask_b32_e32 v10, v3, v10, vcc
	v_cmp_ne_u32_e32 vcc, 0, v6
	v_cndmask_b32_e64 v6, 0, 1, vcc
	v_lshl_or_b32 v6, v6, 9, v3
	v_cmp_eq_u32_e32 vcc, s10, v12
	v_lshrrev_b32_e32 v12, 16, v7
	v_cndmask_b32_e32 v6, v10, v6, vcc
	v_lshrrev_b32_e32 v10, 16, v11
	v_mul_f16_sdwa v11, v44, v12 dst_sel:DWORD dst_unused:UNUSED_PAD src0_sel:WORD_1 src1_sel:DWORD
	v_fma_f16 v11, v44, v7, v11
	v_cvt_f32_f16_e32 v11, v11
	v_and_or_b32 v6, v10, s11, v6
	s_mul_i32 s0, s9, 0x898
	s_mul_hi_u32 s4, s8, 0x898
	v_cvt_f64_f32_e32 v[10:11], v11
	v_and_b32_e32 v1, 0xffff, v1
	s_add_i32 s4, s4, s0
	s_mul_i32 s5, s8, 0x898
	v_mul_f64 v[10:11], v[10:11], s[2:3]
	v_lshl_or_b32 v1, v6, 16, v1
	v_mov_b32_e32 v6, s4
	v_add_co_u32_e32 v8, vcc, s5, v8
	v_addc_co_u32_e32 v9, vcc, v9, v6, vcc
	global_store_dword v[8:9], v1, off
	v_and_or_b32 v1, v11, s6, v10
	v_cmp_ne_u32_e32 vcc, 0, v1
	v_cndmask_b32_e64 v1, 0, 1, vcc
	v_lshrrev_b32_e32 v6, 8, v11
	v_bfe_u32 v10, v11, 20, 11
	v_and_or_b32 v1, v6, s7, v1
	v_sub_u32_e32 v13, 0x3f1, v10
	v_or_b32_e32 v6, 0x1000, v1
	v_med3_i32 v13, v13, 0, 13
	v_lshrrev_b32_e32 v14, v13, v6
	v_mul_f16_sdwa v7, v44, v7 dst_sel:DWORD dst_unused:UNUSED_PAD src0_sel:WORD_1 src1_sel:DWORD
	v_lshlrev_b32_e32 v13, v13, v14
	v_fma_f16 v7, v44, v12, -v7
	v_cmp_ne_u32_e32 vcc, v13, v6
	v_cvt_f32_f16_e32 v7, v7
	v_cndmask_b32_e64 v6, 0, 1, vcc
	v_add_u32_e32 v10, 0xfffffc10, v10
	v_or_b32_e32 v6, v14, v6
	v_lshl_or_b32 v13, v10, 12, v1
	v_cmp_gt_i32_e32 vcc, 1, v10
	v_cndmask_b32_e32 v6, v13, v6, vcc
	v_and_b32_e32 v13, 7, v6
	v_lshrrev_b32_e32 v12, 2, v6
	v_cvt_f64_f32_e32 v[6:7], v7
	v_cmp_lt_i32_e32 vcc, 5, v13
	v_cmp_eq_u32_e64 s[0:1], 3, v13
	s_or_b64 vcc, s[0:1], vcc
	v_mul_f64 v[6:7], v[6:7], s[2:3]
	v_addc_co_u32_e32 v12, vcc, 0, v12, vcc
	v_cmp_gt_i32_e32 vcc, 31, v10
	v_cndmask_b32_e32 v12, v3, v12, vcc
	v_cmp_ne_u32_e32 vcc, 0, v1
	v_cndmask_b32_e64 v1, 0, 1, vcc
	v_lshl_or_b32 v1, v1, 9, v3
	v_cmp_eq_u32_e32 vcc, s10, v10
	v_and_or_b32 v6, v7, s6, v6
	v_cndmask_b32_e32 v1, v12, v1, vcc
	v_lshrrev_b32_e32 v10, 16, v11
	v_cmp_ne_u32_e32 vcc, 0, v6
	v_and_or_b32 v1, v10, s11, v1
	v_cndmask_b32_e64 v6, 0, 1, vcc
	v_lshrrev_b32_e32 v10, 8, v7
	v_bfe_u32 v11, v7, 20, 11
	v_and_or_b32 v6, v10, s7, v6
	v_sub_u32_e32 v12, 0x3f1, v11
	v_or_b32_e32 v10, 0x1000, v6
	v_med3_i32 v12, v12, 0, 13
	v_lshrrev_b32_e32 v13, v12, v10
	v_lshlrev_b32_e32 v12, v12, v13
	v_cmp_ne_u32_e32 vcc, v12, v10
	v_cndmask_b32_e64 v10, 0, 1, vcc
	v_add_u32_e32 v11, 0xfffffc10, v11
	v_or_b32_e32 v10, v13, v10
	v_lshl_or_b32 v12, v11, 12, v6
	v_cmp_gt_i32_e32 vcc, 1, v11
	v_cndmask_b32_e32 v10, v12, v10, vcc
	v_and_b32_e32 v12, 7, v10
	v_cmp_lt_i32_e32 vcc, 5, v12
	v_cmp_eq_u32_e64 s[0:1], 3, v12
	v_lshrrev_b32_e32 v10, 2, v10
	s_or_b64 vcc, s[0:1], vcc
	v_addc_co_u32_e32 v10, vcc, 0, v10, vcc
	v_cmp_gt_i32_e32 vcc, 31, v11
	v_cndmask_b32_e32 v10, v3, v10, vcc
	v_cmp_ne_u32_e32 vcc, 0, v6
	v_cndmask_b32_e64 v6, 0, 1, vcc
	v_lshl_or_b32 v12, v6, 9, v3
	ds_read2_b32 v[5:6], v5 offset0:20 offset1:130
	v_cmp_eq_u32_e32 vcc, s10, v11
	v_cndmask_b32_e32 v10, v10, v12, vcc
	v_lshrrev_b32_e32 v7, 16, v7
	v_and_or_b32 v7, v7, s11, v10
	s_waitcnt lgkmcnt(0)
	v_lshrrev_b32_e32 v12, 16, v5
	v_mul_f16_sdwa v10, v43, v12 dst_sel:DWORD dst_unused:UNUSED_PAD src0_sel:WORD_1 src1_sel:DWORD
	v_fma_f16 v10, v43, v5, v10
	v_cvt_f32_f16_e32 v10, v10
	s_mul_hi_u32 s1, s8, 0xfffff920
	s_mul_i32 s0, s9, 0xfffff920
	s_sub_i32 s9, s1, s8
	v_cvt_f64_f32_e32 v[10:11], v10
	v_and_b32_e32 v1, 0xffff, v1
	s_add_i32 s9, s9, s0
	s_mulk_i32 s8, 0xf920
	v_mul_f64 v[10:11], v[10:11], s[2:3]
	v_lshl_or_b32 v1, v7, 16, v1
	v_mov_b32_e32 v13, s9
	v_add_co_u32_e32 v7, vcc, s8, v8
	v_addc_co_u32_e32 v8, vcc, v9, v13, vcc
	global_store_dword v[7:8], v1, off
	v_and_or_b32 v1, v11, s6, v10
	v_cmp_ne_u32_e32 vcc, 0, v1
	v_cndmask_b32_e64 v1, 0, 1, vcc
	v_lshrrev_b32_e32 v9, 8, v11
	v_bfe_u32 v10, v11, 20, 11
	v_and_or_b32 v1, v9, s7, v1
	v_sub_u32_e32 v13, 0x3f1, v10
	v_or_b32_e32 v9, 0x1000, v1
	v_med3_i32 v13, v13, 0, 13
	v_lshrrev_b32_e32 v14, v13, v9
	v_lshlrev_b32_e32 v13, v13, v14
	v_mul_f16_sdwa v5, v43, v5 dst_sel:DWORD dst_unused:UNUSED_PAD src0_sel:WORD_1 src1_sel:DWORD
	v_cmp_ne_u32_e32 vcc, v13, v9
	v_fma_f16 v5, v43, v12, -v5
	v_cndmask_b32_e64 v9, 0, 1, vcc
	v_add_u32_e32 v13, 0xfffffc10, v10
	v_cvt_f32_f16_e32 v5, v5
	v_or_b32_e32 v9, v14, v9
	v_lshl_or_b32 v10, v13, 12, v1
	v_cmp_gt_i32_e32 vcc, 1, v13
	v_cndmask_b32_e32 v9, v10, v9, vcc
	v_and_b32_e32 v10, 7, v9
	v_cmp_lt_i32_e32 vcc, 5, v10
	v_cmp_eq_u32_e64 s[0:1], 3, v10
	v_lshrrev_b32_e32 v12, 2, v9
	v_cvt_f64_f32_e32 v[9:10], v5
	s_or_b64 vcc, s[0:1], vcc
	v_addc_co_u32_e32 v5, vcc, 0, v12, vcc
	v_mul_f64 v[9:10], v[9:10], s[2:3]
	v_cmp_gt_i32_e32 vcc, 31, v13
	v_cndmask_b32_e32 v5, v3, v5, vcc
	v_cmp_ne_u32_e32 vcc, 0, v1
	v_cndmask_b32_e64 v1, 0, 1, vcc
	v_lshl_or_b32 v1, v1, 9, v3
	v_cmp_eq_u32_e32 vcc, s10, v13
	v_cndmask_b32_e32 v1, v5, v1, vcc
	v_lshrrev_b32_e32 v5, 16, v11
	v_and_or_b32 v1, v5, s11, v1
	v_and_or_b32 v5, v10, s6, v9
	v_cmp_ne_u32_e32 vcc, 0, v5
	v_cndmask_b32_e64 v5, 0, 1, vcc
	v_lshrrev_b32_e32 v9, 8, v10
	v_bfe_u32 v11, v10, 20, 11
	v_and_or_b32 v9, v9, s7, v5
	v_sub_u32_e32 v12, 0x3f1, v11
	v_or_b32_e32 v5, 0x1000, v9
	v_med3_i32 v12, v12, 0, 13
	v_lshrrev_b32_e32 v13, v12, v5
	v_lshlrev_b32_e32 v12, v12, v13
	v_cmp_ne_u32_e32 vcc, v12, v5
	v_cndmask_b32_e64 v5, 0, 1, vcc
	v_add_u32_e32 v11, 0xfffffc10, v11
	v_or_b32_e32 v5, v13, v5
	v_lshl_or_b32 v12, v11, 12, v9
	v_cmp_gt_i32_e32 vcc, 1, v11
	v_cndmask_b32_e32 v5, v12, v5, vcc
	v_and_b32_e32 v12, 7, v5
	v_cmp_lt_i32_e32 vcc, 5, v12
	v_cmp_eq_u32_e64 s[0:1], 3, v12
	v_lshrrev_b32_e32 v5, 2, v5
	s_or_b64 vcc, s[0:1], vcc
	v_addc_co_u32_e32 v12, vcc, 0, v5, vcc
	ds_read2_b32 v[4:5], v4 offset0:92 offset1:202
	v_cmp_gt_i32_e32 vcc, 31, v11
	v_cndmask_b32_e32 v12, v3, v12, vcc
	v_cmp_ne_u32_e32 vcc, 0, v9
	v_cndmask_b32_e64 v9, 0, 1, vcc
	s_waitcnt lgkmcnt(0)
	v_lshrrev_b32_e32 v13, 16, v4
	v_mul_f16_sdwa v14, v42, v13 dst_sel:DWORD dst_unused:UNUSED_PAD src0_sel:WORD_1 src1_sel:DWORD
	v_fma_f16 v14, v42, v4, v14
	v_cvt_f32_f16_e32 v14, v14
	v_lshl_or_b32 v9, v9, 9, v3
	v_cmp_eq_u32_e32 vcc, s10, v11
	v_cndmask_b32_e32 v9, v12, v9, vcc
	v_cvt_f64_f32_e32 v[11:12], v14
	v_lshrrev_b32_e32 v10, 16, v10
	v_and_or_b32 v14, v10, s11, v9
	v_and_b32_e32 v1, 0xffff, v1
	v_mul_f64 v[9:10], v[11:12], s[2:3]
	v_mov_b32_e32 v11, s4
	v_add_co_u32_e32 v7, vcc, s5, v7
	v_lshl_or_b32 v1, v14, 16, v1
	v_addc_co_u32_e32 v8, vcc, v8, v11, vcc
	global_store_dword v[7:8], v1, off
	v_and_or_b32 v1, v10, s6, v9
	v_cmp_ne_u32_e32 vcc, 0, v1
	v_cndmask_b32_e64 v1, 0, 1, vcc
	v_lshrrev_b32_e32 v9, 8, v10
	v_bfe_u32 v11, v10, 20, 11
	v_and_or_b32 v1, v9, s7, v1
	v_sub_u32_e32 v12, 0x3f1, v11
	v_or_b32_e32 v9, 0x1000, v1
	v_med3_i32 v12, v12, 0, 13
	v_lshrrev_b32_e32 v14, v12, v9
	v_lshlrev_b32_e32 v12, v12, v14
	v_cmp_ne_u32_e32 vcc, v12, v9
	v_mul_f16_sdwa v4, v42, v4 dst_sel:DWORD dst_unused:UNUSED_PAD src0_sel:WORD_1 src1_sel:DWORD
	v_cndmask_b32_e64 v9, 0, 1, vcc
	v_fma_f16 v4, v42, v13, -v4
	v_or_b32_e32 v9, v14, v9
	v_add_u32_e32 v14, 0xfffffc10, v11
	v_cvt_f32_f16_e32 v4, v4
	v_lshl_or_b32 v11, v14, 12, v1
	v_cmp_gt_i32_e32 vcc, 1, v14
	v_cndmask_b32_e32 v9, v11, v9, vcc
	v_and_b32_e32 v11, 7, v9
	v_cmp_lt_i32_e32 vcc, 5, v11
	v_cmp_eq_u32_e64 s[0:1], 3, v11
	v_cvt_f64_f32_e32 v[11:12], v4
	v_lshrrev_b32_e32 v9, 2, v9
	s_or_b64 vcc, s[0:1], vcc
	v_addc_co_u32_e32 v4, vcc, 0, v9, vcc
	v_mul_f64 v[11:12], v[11:12], s[2:3]
	v_cmp_gt_i32_e32 vcc, 31, v14
	v_cndmask_b32_e32 v4, v3, v4, vcc
	v_cmp_ne_u32_e32 vcc, 0, v1
	v_cndmask_b32_e64 v1, 0, 1, vcc
	v_lshl_or_b32 v1, v1, 9, v3
	v_cmp_eq_u32_e32 vcc, s10, v14
	v_cndmask_b32_e32 v1, v4, v1, vcc
	v_lshrrev_b32_e32 v4, 16, v10
	v_and_or_b32 v1, v4, s11, v1
	v_and_or_b32 v4, v12, s6, v11
	v_cmp_ne_u32_e32 vcc, 0, v4
	v_cndmask_b32_e64 v4, 0, 1, vcc
	v_lshrrev_b32_e32 v9, 8, v12
	v_bfe_u32 v10, v12, 20, 11
	v_and_or_b32 v4, v9, s7, v4
	v_sub_u32_e32 v11, 0x3f1, v10
	v_or_b32_e32 v9, 0x1000, v4
	v_med3_i32 v11, v11, 0, 13
	v_lshrrev_b32_e32 v13, v11, v9
	v_lshlrev_b32_e32 v11, v11, v13
	v_cmp_ne_u32_e32 vcc, v11, v9
	v_cndmask_b32_e64 v9, 0, 1, vcc
	v_add_u32_e32 v10, 0xfffffc10, v10
	v_or_b32_e32 v9, v13, v9
	v_lshl_or_b32 v11, v10, 12, v4
	v_cmp_gt_i32_e32 vcc, 1, v10
	v_cndmask_b32_e32 v9, v11, v9, vcc
	v_and_b32_e32 v11, 7, v9
	v_cmp_lt_i32_e32 vcc, 5, v11
	v_cmp_eq_u32_e64 s[0:1], 3, v11
	v_lshrrev_b32_e32 v11, 16, v6
	v_lshrrev_b32_e32 v9, 2, v9
	s_or_b64 vcc, s[0:1], vcc
	v_mul_f16_sdwa v13, v41, v11 dst_sel:DWORD dst_unused:UNUSED_PAD src0_sel:WORD_1 src1_sel:DWORD
	v_addc_co_u32_e32 v9, vcc, 0, v9, vcc
	v_fma_f16 v13, v41, v6, v13
	v_cmp_gt_i32_e32 vcc, 31, v10
	v_cvt_f32_f16_e32 v13, v13
	v_cndmask_b32_e32 v9, v3, v9, vcc
	v_cmp_ne_u32_e32 vcc, 0, v4
	v_cndmask_b32_e64 v4, 0, 1, vcc
	v_lshl_or_b32 v4, v4, 9, v3
	v_cmp_eq_u32_e32 vcc, s10, v10
	v_cndmask_b32_e32 v4, v9, v4, vcc
	v_cvt_f64_f32_e32 v[9:10], v13
	v_lshrrev_b32_e32 v12, 16, v12
	v_and_or_b32 v4, v12, s11, v4
	v_and_b32_e32 v1, 0xffff, v1
	v_mul_f64 v[9:10], v[9:10], s[2:3]
	v_lshl_or_b32 v1, v4, 16, v1
	v_mov_b32_e32 v4, s9
	v_add_co_u32_e32 v7, vcc, s8, v7
	v_addc_co_u32_e32 v8, vcc, v8, v4, vcc
	global_store_dword v[7:8], v1, off
	v_and_or_b32 v1, v10, s6, v9
	v_cmp_ne_u32_e32 vcc, 0, v1
	v_cndmask_b32_e64 v1, 0, 1, vcc
	v_lshrrev_b32_e32 v4, 8, v10
	v_bfe_u32 v9, v10, 20, 11
	v_and_or_b32 v1, v4, s7, v1
	v_sub_u32_e32 v12, 0x3f1, v9
	v_or_b32_e32 v4, 0x1000, v1
	v_med3_i32 v12, v12, 0, 13
	v_lshrrev_b32_e32 v13, v12, v4
	v_lshlrev_b32_e32 v12, v12, v13
	v_mul_f16_sdwa v6, v41, v6 dst_sel:DWORD dst_unused:UNUSED_PAD src0_sel:WORD_1 src1_sel:DWORD
	v_cmp_ne_u32_e32 vcc, v12, v4
	v_fma_f16 v6, v41, v11, -v6
	v_cndmask_b32_e64 v4, 0, 1, vcc
	v_add_u32_e32 v9, 0xfffffc10, v9
	v_cvt_f32_f16_e32 v6, v6
	v_or_b32_e32 v4, v13, v4
	v_lshl_or_b32 v12, v9, 12, v1
	v_cmp_gt_i32_e32 vcc, 1, v9
	v_cndmask_b32_e32 v4, v12, v4, vcc
	v_and_b32_e32 v12, 7, v4
	v_cmp_lt_i32_e32 vcc, 5, v12
	v_cmp_eq_u32_e64 s[0:1], 3, v12
	v_cvt_f64_f32_e32 v[11:12], v6
	v_lshrrev_b32_e32 v4, 2, v4
	s_or_b64 vcc, s[0:1], vcc
	v_addc_co_u32_e32 v4, vcc, 0, v4, vcc
	v_mul_f64 v[11:12], v[11:12], s[2:3]
	v_cmp_gt_i32_e32 vcc, 31, v9
	v_cndmask_b32_e32 v4, v3, v4, vcc
	v_cmp_ne_u32_e32 vcc, 0, v1
	v_cndmask_b32_e64 v1, 0, 1, vcc
	v_lshl_or_b32 v1, v1, 9, v3
	v_cmp_eq_u32_e32 vcc, s10, v9
	v_cndmask_b32_e32 v1, v4, v1, vcc
	v_lshrrev_b32_e32 v4, 16, v10
	v_and_or_b32 v1, v4, s11, v1
	v_and_or_b32 v4, v12, s6, v11
	v_cmp_ne_u32_e32 vcc, 0, v4
	v_cndmask_b32_e64 v4, 0, 1, vcc
	v_lshrrev_b32_e32 v6, 8, v12
	v_bfe_u32 v9, v12, 20, 11
	v_and_or_b32 v4, v6, s7, v4
	v_sub_u32_e32 v10, 0x3f1, v9
	v_or_b32_e32 v6, 0x1000, v4
	v_med3_i32 v10, v10, 0, 13
	v_lshrrev_b32_e32 v11, v10, v6
	v_lshlrev_b32_e32 v10, v10, v11
	v_cmp_ne_u32_e32 vcc, v10, v6
	v_cndmask_b32_e64 v6, 0, 1, vcc
	v_add_u32_e32 v9, 0xfffffc10, v9
	v_or_b32_e32 v6, v11, v6
	v_lshl_or_b32 v10, v9, 12, v4
	v_cmp_gt_i32_e32 vcc, 1, v9
	v_cndmask_b32_e32 v6, v10, v6, vcc
	v_and_b32_e32 v10, 7, v6
	v_lshrrev_b32_e32 v11, 16, v5
	v_cmp_lt_i32_e32 vcc, 5, v10
	v_cmp_eq_u32_e64 s[0:1], 3, v10
	v_mul_f16_sdwa v10, v40, v11 dst_sel:DWORD dst_unused:UNUSED_PAD src0_sel:WORD_1 src1_sel:DWORD
	v_fma_f16 v10, v40, v5, v10
	v_lshrrev_b32_e32 v6, 2, v6
	s_or_b64 vcc, s[0:1], vcc
	v_cvt_f32_f16_e32 v10, v10
	v_addc_co_u32_e32 v6, vcc, 0, v6, vcc
	v_cmp_gt_i32_e32 vcc, 31, v9
	v_cndmask_b32_e32 v6, v3, v6, vcc
	v_cmp_ne_u32_e32 vcc, 0, v4
	v_cndmask_b32_e64 v4, 0, 1, vcc
	v_cmp_eq_u32_e32 vcc, s10, v9
	v_cvt_f64_f32_e32 v[9:10], v10
	v_lshl_or_b32 v4, v4, 9, v3
	v_cndmask_b32_e32 v4, v6, v4, vcc
	v_lshrrev_b32_e32 v6, 16, v12
	v_mul_f64 v[9:10], v[9:10], s[2:3]
	v_and_or_b32 v4, v6, s11, v4
	v_and_b32_e32 v1, 0xffff, v1
	v_lshl_or_b32 v1, v4, 16, v1
	v_mov_b32_e32 v4, s4
	v_add_co_u32_e32 v6, vcc, s5, v7
	v_addc_co_u32_e32 v7, vcc, v8, v4, vcc
	global_store_dword v[6:7], v1, off
	v_and_or_b32 v1, v10, s6, v9
	v_cmp_ne_u32_e32 vcc, 0, v1
	v_cndmask_b32_e64 v1, 0, 1, vcc
	v_lshrrev_b32_e32 v4, 8, v10
	v_bfe_u32 v8, v10, 20, 11
	v_and_or_b32 v1, v4, s7, v1
	v_sub_u32_e32 v9, 0x3f1, v8
	v_or_b32_e32 v4, 0x1000, v1
	v_med3_i32 v9, v9, 0, 13
	v_lshrrev_b32_e32 v12, v9, v4
	v_lshlrev_b32_e32 v9, v9, v12
	v_mul_f16_sdwa v5, v40, v5 dst_sel:DWORD dst_unused:UNUSED_PAD src0_sel:WORD_1 src1_sel:DWORD
	v_cmp_ne_u32_e32 vcc, v9, v4
	v_fma_f16 v5, v40, v11, -v5
	v_cndmask_b32_e64 v4, 0, 1, vcc
	v_add_u32_e32 v8, 0xfffffc10, v8
	v_cvt_f32_f16_e32 v5, v5
	v_or_b32_e32 v4, v12, v4
	v_lshl_or_b32 v9, v8, 12, v1
	v_cmp_gt_i32_e32 vcc, 1, v8
	v_cndmask_b32_e32 v4, v9, v4, vcc
	v_and_b32_e32 v9, 7, v4
	v_cmp_lt_i32_e32 vcc, 5, v9
	v_cmp_eq_u32_e64 s[0:1], 3, v9
	v_lshrrev_b32_e32 v9, 2, v4
	v_cvt_f64_f32_e32 v[4:5], v5
	s_or_b64 vcc, s[0:1], vcc
	v_addc_co_u32_e32 v9, vcc, 0, v9, vcc
	v_mul_f64 v[4:5], v[4:5], s[2:3]
	v_cmp_gt_i32_e32 vcc, 31, v8
	v_cndmask_b32_e32 v9, v3, v9, vcc
	v_cmp_ne_u32_e32 vcc, 0, v1
	v_cndmask_b32_e64 v1, 0, 1, vcc
	v_lshl_or_b32 v1, v1, 9, v3
	v_cmp_eq_u32_e32 vcc, s10, v8
	v_cndmask_b32_e32 v1, v9, v1, vcc
	v_lshrrev_b32_e32 v8, 16, v10
	v_and_or_b32 v10, v8, s11, v1
	v_and_or_b32 v1, v5, s6, v4
	v_cmp_ne_u32_e32 vcc, 0, v1
	v_cndmask_b32_e64 v1, 0, 1, vcc
	v_lshrrev_b32_e32 v4, 8, v5
	v_bfe_u32 v8, v5, 20, 11
	v_and_or_b32 v4, v4, s7, v1
	v_sub_u32_e32 v9, 0x3f1, v8
	v_or_b32_e32 v1, 0x1000, v4
	v_med3_i32 v9, v9, 0, 13
	v_lshrrev_b32_e32 v11, v9, v1
	v_lshlrev_b32_e32 v9, v9, v11
	v_cmp_ne_u32_e32 vcc, v9, v1
	v_cndmask_b32_e64 v1, 0, 1, vcc
	v_add_u32_e32 v8, 0xfffffc10, v8
	v_or_b32_e32 v1, v11, v1
	v_lshl_or_b32 v9, v8, 12, v4
	v_cmp_gt_i32_e32 vcc, 1, v8
	v_cndmask_b32_e32 v1, v9, v1, vcc
	v_and_b32_e32 v9, 7, v1
	v_cmp_lt_i32_e32 vcc, 5, v9
	v_cmp_eq_u32_e64 s[0:1], 3, v9
	v_lshrrev_b32_e32 v1, 2, v1
	s_or_b64 vcc, s[0:1], vcc
	v_addc_co_u32_e32 v9, vcc, 0, v1, vcc
	ds_read2_b32 v[1:2], v2 offset0:112 offset1:222
	v_cmp_gt_i32_e32 vcc, 31, v8
	v_cndmask_b32_e32 v9, v3, v9, vcc
	v_cmp_ne_u32_e32 vcc, 0, v4
	v_cndmask_b32_e64 v4, 0, 1, vcc
	s_waitcnt lgkmcnt(0)
	v_lshrrev_b32_e32 v11, 16, v1
	v_mul_f16_sdwa v12, v39, v11 dst_sel:DWORD dst_unused:UNUSED_PAD src0_sel:WORD_1 src1_sel:DWORD
	v_fma_f16 v12, v39, v1, v12
	v_cvt_f32_f16_e32 v12, v12
	v_lshl_or_b32 v4, v4, 9, v3
	v_cmp_eq_u32_e32 vcc, s10, v8
	v_cndmask_b32_e32 v4, v9, v4, vcc
	v_cvt_f64_f32_e32 v[8:9], v12
	v_lshrrev_b32_e32 v5, 16, v5
	v_and_or_b32 v12, v5, s11, v4
	v_add_co_u32_e32 v6, vcc, s8, v6
	v_mul_f64 v[4:5], v[8:9], s[2:3]
	v_mov_b32_e32 v9, s9
	v_and_b32_e32 v10, 0xffff, v10
	v_addc_co_u32_e32 v7, vcc, v7, v9, vcc
	v_lshl_or_b32 v8, v12, 16, v10
	global_store_dword v[6:7], v8, off
	v_mul_f16_sdwa v1, v39, v1 dst_sel:DWORD dst_unused:UNUSED_PAD src0_sel:WORD_1 src1_sel:DWORD
	v_and_or_b32 v4, v5, s6, v4
	v_cmp_ne_u32_e32 vcc, 0, v4
	v_cndmask_b32_e64 v4, 0, 1, vcc
	v_lshrrev_b32_e32 v8, 8, v5
	v_bfe_u32 v9, v5, 20, 11
	v_and_or_b32 v4, v8, s7, v4
	v_sub_u32_e32 v10, 0x3f1, v9
	v_or_b32_e32 v8, 0x1000, v4
	v_med3_i32 v10, v10, 0, 13
	v_lshrrev_b32_e32 v12, v10, v8
	v_lshlrev_b32_e32 v10, v10, v12
	v_cmp_ne_u32_e32 vcc, v10, v8
	v_fma_f16 v1, v39, v11, -v1
	v_cndmask_b32_e64 v8, 0, 1, vcc
	v_add_u32_e32 v10, 0xfffffc10, v9
	v_cvt_f32_f16_e32 v1, v1
	v_or_b32_e32 v8, v12, v8
	v_lshl_or_b32 v9, v10, 12, v4
	v_cmp_gt_i32_e32 vcc, 1, v10
	v_cndmask_b32_e32 v8, v9, v8, vcc
	v_and_b32_e32 v9, 7, v8
	v_cmp_lt_i32_e32 vcc, 5, v9
	v_cmp_eq_u32_e64 s[0:1], 3, v9
	v_lshrrev_b32_e32 v11, 2, v8
	v_cvt_f64_f32_e32 v[8:9], v1
	s_or_b64 vcc, s[0:1], vcc
	v_addc_co_u32_e32 v1, vcc, 0, v11, vcc
	v_mul_f64 v[8:9], v[8:9], s[2:3]
	v_cmp_gt_i32_e32 vcc, 31, v10
	v_cndmask_b32_e32 v1, v3, v1, vcc
	v_cmp_ne_u32_e32 vcc, 0, v4
	v_cndmask_b32_e64 v4, 0, 1, vcc
	v_lshl_or_b32 v4, v4, 9, v3
	v_cmp_eq_u32_e32 vcc, s10, v10
	v_cndmask_b32_e32 v1, v1, v4, vcc
	v_lshrrev_b32_e32 v4, 16, v5
	v_and_or_b32 v1, v4, s11, v1
	v_and_or_b32 v4, v9, s6, v8
	v_cmp_ne_u32_e32 vcc, 0, v4
	v_cndmask_b32_e64 v4, 0, 1, vcc
	v_lshrrev_b32_e32 v5, 8, v9
	v_bfe_u32 v8, v9, 20, 11
	v_and_or_b32 v4, v5, s7, v4
	v_sub_u32_e32 v10, 0x3f1, v8
	v_or_b32_e32 v5, 0x1000, v4
	v_med3_i32 v10, v10, 0, 13
	v_lshrrev_b32_e32 v11, v10, v5
	v_lshlrev_b32_e32 v10, v10, v11
	v_cmp_ne_u32_e32 vcc, v10, v5
	v_cndmask_b32_e64 v5, 0, 1, vcc
	v_add_u32_e32 v8, 0xfffffc10, v8
	v_or_b32_e32 v5, v11, v5
	v_lshl_or_b32 v10, v8, 12, v4
	v_cmp_gt_i32_e32 vcc, 1, v8
	v_cndmask_b32_e32 v5, v10, v5, vcc
	v_and_b32_e32 v10, 7, v5
	v_cmp_lt_i32_e32 vcc, 5, v10
	v_cmp_eq_u32_e64 s[0:1], 3, v10
	v_lshrrev_b32_e32 v10, 16, v0
	v_lshrrev_b32_e32 v5, 2, v5
	s_or_b64 vcc, s[0:1], vcc
	v_mul_f16_sdwa v11, v38, v10 dst_sel:DWORD dst_unused:UNUSED_PAD src0_sel:WORD_1 src1_sel:DWORD
	v_addc_co_u32_e32 v5, vcc, 0, v5, vcc
	v_fma_f16 v11, v38, v0, v11
	v_cmp_gt_i32_e32 vcc, 31, v8
	v_cvt_f32_f16_e32 v11, v11
	v_cndmask_b32_e32 v5, v3, v5, vcc
	v_cmp_ne_u32_e32 vcc, 0, v4
	v_cndmask_b32_e64 v4, 0, 1, vcc
	v_lshl_or_b32 v4, v4, 9, v3
	v_cmp_eq_u32_e32 vcc, s10, v8
	v_cndmask_b32_e32 v8, v5, v4, vcc
	v_cvt_f64_f32_e32 v[4:5], v11
	v_lshrrev_b32_e32 v9, 16, v9
	v_and_or_b32 v8, v9, s11, v8
	v_and_b32_e32 v1, 0xffff, v1
	v_mul_f64 v[4:5], v[4:5], s[2:3]
	v_lshl_or_b32 v1, v8, 16, v1
	v_mov_b32_e32 v8, s4
	v_add_co_u32_e32 v6, vcc, s5, v6
	v_addc_co_u32_e32 v7, vcc, v7, v8, vcc
	global_store_dword v[6:7], v1, off
	v_and_or_b32 v1, v5, s6, v4
	v_cmp_ne_u32_e32 vcc, 0, v1
	v_cndmask_b32_e64 v1, 0, 1, vcc
	v_lshrrev_b32_e32 v4, 8, v5
	v_bfe_u32 v8, v5, 20, 11
	v_and_or_b32 v4, v4, s7, v1
	v_sub_u32_e32 v9, 0x3f1, v8
	v_or_b32_e32 v1, 0x1000, v4
	v_med3_i32 v9, v9, 0, 13
	v_lshrrev_b32_e32 v11, v9, v1
	v_lshlrev_b32_e32 v9, v9, v11
	v_mul_f16_sdwa v0, v38, v0 dst_sel:DWORD dst_unused:UNUSED_PAD src0_sel:WORD_1 src1_sel:DWORD
	v_cmp_ne_u32_e32 vcc, v9, v1
	v_fma_f16 v0, v38, v10, -v0
	v_cndmask_b32_e64 v1, 0, 1, vcc
	v_add_u32_e32 v8, 0xfffffc10, v8
	v_cvt_f32_f16_e32 v0, v0
	v_or_b32_e32 v1, v11, v1
	v_lshl_or_b32 v9, v8, 12, v4
	v_cmp_gt_i32_e32 vcc, 1, v8
	v_cndmask_b32_e32 v1, v9, v1, vcc
	v_and_b32_e32 v9, 7, v1
	v_cmp_lt_i32_e32 vcc, 5, v9
	v_cmp_eq_u32_e64 s[0:1], 3, v9
	v_lshrrev_b32_e32 v9, 2, v1
	v_cvt_f64_f32_e32 v[0:1], v0
	s_or_b64 vcc, s[0:1], vcc
	v_addc_co_u32_e32 v9, vcc, 0, v9, vcc
	v_mul_f64 v[0:1], v[0:1], s[2:3]
	v_cmp_gt_i32_e32 vcc, 31, v8
	v_cndmask_b32_e32 v9, v3, v9, vcc
	v_cmp_ne_u32_e32 vcc, 0, v4
	v_cndmask_b32_e64 v4, 0, 1, vcc
	v_lshl_or_b32 v4, v4, 9, v3
	v_cmp_eq_u32_e32 vcc, s10, v8
	v_cndmask_b32_e32 v4, v9, v4, vcc
	v_and_or_b32 v0, v1, s6, v0
	v_lshrrev_b32_e32 v5, 16, v5
	v_cmp_ne_u32_e32 vcc, 0, v0
	v_and_or_b32 v8, v5, s11, v4
	v_cndmask_b32_e64 v0, 0, 1, vcc
	v_lshrrev_b32_e32 v4, 8, v1
	v_bfe_u32 v5, v1, 20, 11
	v_and_or_b32 v0, v4, s7, v0
	v_sub_u32_e32 v9, 0x3f1, v5
	v_or_b32_e32 v4, 0x1000, v0
	v_med3_i32 v9, v9, 0, 13
	v_lshrrev_b32_e32 v10, v9, v4
	v_lshlrev_b32_e32 v9, v9, v10
	v_cmp_ne_u32_e32 vcc, v9, v4
	v_cndmask_b32_e64 v4, 0, 1, vcc
	v_add_u32_e32 v5, 0xfffffc10, v5
	v_or_b32_e32 v4, v10, v4
	v_lshl_or_b32 v9, v5, 12, v0
	v_cmp_gt_i32_e32 vcc, 1, v5
	v_cndmask_b32_e32 v4, v9, v4, vcc
	v_and_b32_e32 v9, 7, v4
	v_cmp_lt_i32_e32 vcc, 5, v9
	v_cmp_eq_u32_e64 s[0:1], 3, v9
	v_lshrrev_b32_e32 v9, 16, v2
	v_lshrrev_b32_e32 v4, 2, v4
	s_or_b64 vcc, s[0:1], vcc
	v_mul_f16_sdwa v10, v37, v9 dst_sel:DWORD dst_unused:UNUSED_PAD src0_sel:WORD_1 src1_sel:DWORD
	v_addc_co_u32_e32 v4, vcc, 0, v4, vcc
	v_fma_f16 v10, v37, v2, v10
	v_cmp_gt_i32_e32 vcc, 31, v5
	v_cvt_f32_f16_e32 v10, v10
	v_cndmask_b32_e32 v4, v3, v4, vcc
	v_cmp_ne_u32_e32 vcc, 0, v0
	v_cndmask_b32_e64 v0, 0, 1, vcc
	v_lshl_or_b32 v0, v0, 9, v3
	v_cmp_eq_u32_e32 vcc, s10, v5
	v_cndmask_b32_e32 v0, v4, v0, vcc
	v_cvt_f64_f32_e32 v[4:5], v10
	v_lshrrev_b32_e32 v1, 16, v1
	v_and_or_b32 v10, v1, s11, v0
	v_and_b32_e32 v8, 0xffff, v8
	v_mul_f64 v[0:1], v[4:5], s[2:3]
	v_mov_b32_e32 v5, s9
	v_add_co_u32_e32 v4, vcc, s8, v6
	v_addc_co_u32_e32 v5, vcc, v7, v5, vcc
	v_lshl_or_b32 v8, v10, 16, v8
	global_store_dword v[4:5], v8, off
	v_and_or_b32 v0, v1, s6, v0
	v_cmp_ne_u32_e32 vcc, 0, v0
	v_cndmask_b32_e64 v0, 0, 1, vcc
	v_lshrrev_b32_e32 v6, 8, v1
	v_bfe_u32 v7, v1, 20, 11
	v_and_or_b32 v0, v6, s7, v0
	v_sub_u32_e32 v8, 0x3f1, v7
	v_or_b32_e32 v6, 0x1000, v0
	v_med3_i32 v8, v8, 0, 13
	v_lshrrev_b32_e32 v10, v8, v6
	v_lshlrev_b32_e32 v8, v8, v10
	v_mul_f16_sdwa v2, v37, v2 dst_sel:DWORD dst_unused:UNUSED_PAD src0_sel:WORD_1 src1_sel:DWORD
	v_cmp_ne_u32_e32 vcc, v8, v6
	v_fma_f16 v2, v37, v9, -v2
	v_cndmask_b32_e64 v6, 0, 1, vcc
	v_add_u32_e32 v8, 0xfffffc10, v7
	v_cvt_f32_f16_e32 v2, v2
	v_or_b32_e32 v6, v10, v6
	v_lshl_or_b32 v7, v8, 12, v0
	v_cmp_gt_i32_e32 vcc, 1, v8
	v_cndmask_b32_e32 v6, v7, v6, vcc
	v_and_b32_e32 v7, 7, v6
	v_cmp_lt_i32_e32 vcc, 5, v7
	v_cmp_eq_u32_e64 s[0:1], 3, v7
	v_lshrrev_b32_e32 v9, 2, v6
	v_cvt_f64_f32_e32 v[6:7], v2
	s_or_b64 vcc, s[0:1], vcc
	v_addc_co_u32_e32 v2, vcc, 0, v9, vcc
	v_mul_f64 v[6:7], v[6:7], s[2:3]
	v_cmp_gt_i32_e32 vcc, 31, v8
	v_cndmask_b32_e32 v2, v3, v2, vcc
	v_cmp_ne_u32_e32 vcc, 0, v0
	v_cndmask_b32_e64 v0, 0, 1, vcc
	v_lshl_or_b32 v0, v0, 9, v3
	v_cmp_eq_u32_e32 vcc, s10, v8
	v_cndmask_b32_e32 v0, v2, v0, vcc
	v_lshrrev_b32_e32 v1, 16, v1
	v_and_or_b32 v0, v1, s11, v0
	v_and_or_b32 v1, v7, s6, v6
	v_cmp_ne_u32_e32 vcc, 0, v1
	v_cndmask_b32_e64 v1, 0, 1, vcc
	v_lshrrev_b32_e32 v2, 8, v7
	v_bfe_u32 v6, v7, 20, 11
	v_and_or_b32 v1, v2, s7, v1
	v_sub_u32_e32 v8, 0x3f1, v6
	v_or_b32_e32 v2, 0x1000, v1
	v_med3_i32 v8, v8, 0, 13
	v_lshrrev_b32_e32 v9, v8, v2
	v_lshlrev_b32_e32 v8, v8, v9
	v_cmp_ne_u32_e32 vcc, v8, v2
	v_cndmask_b32_e64 v2, 0, 1, vcc
	v_add_u32_e32 v6, 0xfffffc10, v6
	v_or_b32_e32 v2, v9, v2
	v_lshl_or_b32 v8, v6, 12, v1
	v_cmp_gt_i32_e32 vcc, 1, v6
	v_cndmask_b32_e32 v2, v8, v2, vcc
	v_and_b32_e32 v8, 7, v2
	v_cmp_lt_i32_e32 vcc, 5, v8
	v_cmp_eq_u32_e64 s[0:1], 3, v8
	v_lshrrev_b32_e32 v2, 2, v2
	s_or_b64 vcc, s[0:1], vcc
	v_addc_co_u32_e32 v2, vcc, 0, v2, vcc
	v_cmp_gt_i32_e32 vcc, 31, v6
	v_cndmask_b32_e32 v2, v3, v2, vcc
	v_cmp_ne_u32_e32 vcc, 0, v1
	v_cndmask_b32_e64 v1, 0, 1, vcc
	v_lshl_or_b32 v1, v1, 9, v3
	v_cmp_eq_u32_e32 vcc, s10, v6
	v_cndmask_b32_e32 v1, v2, v1, vcc
	v_lshrrev_b32_e32 v2, 16, v7
	v_and_or_b32 v1, v2, s11, v1
	v_and_b32_e32 v0, 0xffff, v0
	v_lshl_or_b32 v2, v1, 16, v0
	v_mov_b32_e32 v1, s4
	v_add_co_u32_e32 v0, vcc, s5, v4
	v_addc_co_u32_e32 v1, vcc, v5, v1, vcc
	global_store_dword v[0:1], v2, off
.LBB0_10:
	s_endpgm
	.section	.rodata,"a",@progbits
	.p2align	6, 0x0
	.amdhsa_kernel bluestein_single_back_len1100_dim1_half_op_CI_CI
		.amdhsa_group_segment_fixed_size 4400
		.amdhsa_private_segment_fixed_size 0
		.amdhsa_kernarg_size 104
		.amdhsa_user_sgpr_count 6
		.amdhsa_user_sgpr_private_segment_buffer 1
		.amdhsa_user_sgpr_dispatch_ptr 0
		.amdhsa_user_sgpr_queue_ptr 0
		.amdhsa_user_sgpr_kernarg_segment_ptr 1
		.amdhsa_user_sgpr_dispatch_id 0
		.amdhsa_user_sgpr_flat_scratch_init 0
		.amdhsa_user_sgpr_private_segment_size 0
		.amdhsa_uses_dynamic_stack 0
		.amdhsa_system_sgpr_private_segment_wavefront_offset 0
		.amdhsa_system_sgpr_workgroup_id_x 1
		.amdhsa_system_sgpr_workgroup_id_y 0
		.amdhsa_system_sgpr_workgroup_id_z 0
		.amdhsa_system_sgpr_workgroup_info 0
		.amdhsa_system_vgpr_workitem_id 0
		.amdhsa_next_free_vgpr 140
		.amdhsa_next_free_sgpr 27
		.amdhsa_reserve_vcc 1
		.amdhsa_reserve_flat_scratch 0
		.amdhsa_float_round_mode_32 0
		.amdhsa_float_round_mode_16_64 0
		.amdhsa_float_denorm_mode_32 3
		.amdhsa_float_denorm_mode_16_64 3
		.amdhsa_dx10_clamp 1
		.amdhsa_ieee_mode 1
		.amdhsa_fp16_overflow 0
		.amdhsa_exception_fp_ieee_invalid_op 0
		.amdhsa_exception_fp_denorm_src 0
		.amdhsa_exception_fp_ieee_div_zero 0
		.amdhsa_exception_fp_ieee_overflow 0
		.amdhsa_exception_fp_ieee_underflow 0
		.amdhsa_exception_fp_ieee_inexact 0
		.amdhsa_exception_int_div_zero 0
	.end_amdhsa_kernel
	.text
.Lfunc_end0:
	.size	bluestein_single_back_len1100_dim1_half_op_CI_CI, .Lfunc_end0-bluestein_single_back_len1100_dim1_half_op_CI_CI
                                        ; -- End function
	.section	.AMDGPU.csdata,"",@progbits
; Kernel info:
; codeLenInByte = 18432
; NumSgprs: 31
; NumVgprs: 140
; ScratchSize: 0
; MemoryBound: 0
; FloatMode: 240
; IeeeMode: 1
; LDSByteSize: 4400 bytes/workgroup (compile time only)
; SGPRBlocks: 3
; VGPRBlocks: 34
; NumSGPRsForWavesPerEU: 31
; NumVGPRsForWavesPerEU: 140
; Occupancy: 1
; WaveLimiterHint : 1
; COMPUTE_PGM_RSRC2:SCRATCH_EN: 0
; COMPUTE_PGM_RSRC2:USER_SGPR: 6
; COMPUTE_PGM_RSRC2:TRAP_HANDLER: 0
; COMPUTE_PGM_RSRC2:TGID_X_EN: 1
; COMPUTE_PGM_RSRC2:TGID_Y_EN: 0
; COMPUTE_PGM_RSRC2:TGID_Z_EN: 0
; COMPUTE_PGM_RSRC2:TIDIG_COMP_CNT: 0
	.type	__hip_cuid_15f0bcf1cf486184,@object ; @__hip_cuid_15f0bcf1cf486184
	.section	.bss,"aw",@nobits
	.globl	__hip_cuid_15f0bcf1cf486184
__hip_cuid_15f0bcf1cf486184:
	.byte	0                               ; 0x0
	.size	__hip_cuid_15f0bcf1cf486184, 1

	.ident	"AMD clang version 19.0.0git (https://github.com/RadeonOpenCompute/llvm-project roc-6.4.0 25133 c7fe45cf4b819c5991fe208aaa96edf142730f1d)"
	.section	".note.GNU-stack","",@progbits
	.addrsig
	.addrsig_sym __hip_cuid_15f0bcf1cf486184
	.amdgpu_metadata
---
amdhsa.kernels:
  - .args:
      - .actual_access:  read_only
        .address_space:  global
        .offset:         0
        .size:           8
        .value_kind:     global_buffer
      - .actual_access:  read_only
        .address_space:  global
        .offset:         8
        .size:           8
        .value_kind:     global_buffer
      - .actual_access:  read_only
        .address_space:  global
        .offset:         16
        .size:           8
        .value_kind:     global_buffer
      - .actual_access:  read_only
        .address_space:  global
        .offset:         24
        .size:           8
        .value_kind:     global_buffer
      - .actual_access:  read_only
        .address_space:  global
        .offset:         32
        .size:           8
        .value_kind:     global_buffer
      - .offset:         40
        .size:           8
        .value_kind:     by_value
      - .address_space:  global
        .offset:         48
        .size:           8
        .value_kind:     global_buffer
      - .address_space:  global
        .offset:         56
        .size:           8
        .value_kind:     global_buffer
      - .address_space:  global
        .offset:         64
        .size:           8
        .value_kind:     global_buffer
      - .address_space:  global
        .offset:         72
        .size:           8
        .value_kind:     global_buffer
      - .offset:         80
        .size:           4
        .value_kind:     by_value
      - .address_space:  global
        .offset:         88
        .size:           8
        .value_kind:     global_buffer
      - .address_space:  global
        .offset:         96
        .size:           8
        .value_kind:     global_buffer
    .group_segment_fixed_size: 4400
    .kernarg_segment_align: 8
    .kernarg_segment_size: 104
    .language:       OpenCL C
    .language_version:
      - 2
      - 0
    .max_flat_workgroup_size: 110
    .name:           bluestein_single_back_len1100_dim1_half_op_CI_CI
    .private_segment_fixed_size: 0
    .sgpr_count:     31
    .sgpr_spill_count: 0
    .symbol:         bluestein_single_back_len1100_dim1_half_op_CI_CI.kd
    .uniform_work_group_size: 1
    .uses_dynamic_stack: false
    .vgpr_count:     140
    .vgpr_spill_count: 0
    .wavefront_size: 64
amdhsa.target:   amdgcn-amd-amdhsa--gfx906
amdhsa.version:
  - 1
  - 2
...

	.end_amdgpu_metadata
